;; amdgpu-corpus repo=ROCm/rocFFT kind=compiled arch=gfx1100 opt=O3
	.text
	.amdgcn_target "amdgcn-amd-amdhsa--gfx1100"
	.amdhsa_code_object_version 6
	.protected	fft_rtc_fwd_len1960_factors_4_7_2_7_5_wgs_56_tpt_56_halfLds_dp_ip_CI_sbrr_dirReg ; -- Begin function fft_rtc_fwd_len1960_factors_4_7_2_7_5_wgs_56_tpt_56_halfLds_dp_ip_CI_sbrr_dirReg
	.globl	fft_rtc_fwd_len1960_factors_4_7_2_7_5_wgs_56_tpt_56_halfLds_dp_ip_CI_sbrr_dirReg
	.p2align	8
	.type	fft_rtc_fwd_len1960_factors_4_7_2_7_5_wgs_56_tpt_56_halfLds_dp_ip_CI_sbrr_dirReg,@function
fft_rtc_fwd_len1960_factors_4_7_2_7_5_wgs_56_tpt_56_halfLds_dp_ip_CI_sbrr_dirReg: ; @fft_rtc_fwd_len1960_factors_4_7_2_7_5_wgs_56_tpt_56_halfLds_dp_ip_CI_sbrr_dirReg
; %bb.0:
	s_clause 0x2
	s_load_b64 s[12:13], s[0:1], 0x18
	s_load_b128 s[4:7], s[0:1], 0x0
	s_load_b64 s[10:11], s[0:1], 0x50
	v_mul_u32_u24_e32 v1, 0x493, v0
	v_mov_b32_e32 v3, 0
	v_mov_b32_e32 v4, 0
	s_delay_alu instid0(VALU_DEP_3) | instskip(SKIP_1) | instid1(VALU_DEP_1)
	v_lshrrev_b32_e32 v2, 16, v1
	v_mov_b32_e32 v1, 0
	v_dual_mov_b32 v6, v1 :: v_dual_add_nc_u32 v5, s15, v2
	s_waitcnt lgkmcnt(0)
	s_load_b64 s[8:9], s[12:13], 0x0
	v_cmp_lt_u64_e64 s2, s[6:7], 2
	s_delay_alu instid0(VALU_DEP_1)
	s_and_b32 vcc_lo, exec_lo, s2
	s_cbranch_vccnz .LBB0_8
; %bb.1:
	s_load_b64 s[2:3], s[0:1], 0x10
	v_mov_b32_e32 v3, 0
	s_add_u32 s14, s12, 8
	v_mov_b32_e32 v4, 0
	s_addc_u32 s15, s13, 0
	s_mov_b64 s[18:19], 1
	s_waitcnt lgkmcnt(0)
	s_add_u32 s16, s2, 8
	s_addc_u32 s17, s3, 0
.LBB0_2:                                ; =>This Inner Loop Header: Depth=1
	s_load_b64 s[20:21], s[16:17], 0x0
                                        ; implicit-def: $vgpr7_vgpr8
	s_mov_b32 s2, exec_lo
	s_waitcnt lgkmcnt(0)
	v_or_b32_e32 v2, s21, v6
	s_delay_alu instid0(VALU_DEP_1)
	v_cmpx_ne_u64_e32 0, v[1:2]
	s_xor_b32 s3, exec_lo, s2
	s_cbranch_execz .LBB0_4
; %bb.3:                                ;   in Loop: Header=BB0_2 Depth=1
	v_cvt_f32_u32_e32 v2, s20
	v_cvt_f32_u32_e32 v7, s21
	s_sub_u32 s2, 0, s20
	s_subb_u32 s22, 0, s21
	s_delay_alu instid0(VALU_DEP_1) | instskip(NEXT) | instid1(VALU_DEP_1)
	v_fmac_f32_e32 v2, 0x4f800000, v7
	v_rcp_f32_e32 v2, v2
	s_waitcnt_depctr 0xfff
	v_mul_f32_e32 v2, 0x5f7ffffc, v2
	s_delay_alu instid0(VALU_DEP_1) | instskip(NEXT) | instid1(VALU_DEP_1)
	v_mul_f32_e32 v7, 0x2f800000, v2
	v_trunc_f32_e32 v7, v7
	s_delay_alu instid0(VALU_DEP_1) | instskip(SKIP_1) | instid1(VALU_DEP_2)
	v_fmac_f32_e32 v2, 0xcf800000, v7
	v_cvt_u32_f32_e32 v7, v7
	v_cvt_u32_f32_e32 v2, v2
	s_delay_alu instid0(VALU_DEP_2) | instskip(NEXT) | instid1(VALU_DEP_2)
	v_mul_lo_u32 v8, s2, v7
	v_mul_hi_u32 v9, s2, v2
	v_mul_lo_u32 v10, s22, v2
	s_delay_alu instid0(VALU_DEP_2) | instskip(SKIP_1) | instid1(VALU_DEP_2)
	v_add_nc_u32_e32 v8, v9, v8
	v_mul_lo_u32 v9, s2, v2
	v_add_nc_u32_e32 v8, v8, v10
	s_delay_alu instid0(VALU_DEP_2) | instskip(NEXT) | instid1(VALU_DEP_2)
	v_mul_hi_u32 v10, v2, v9
	v_mul_lo_u32 v11, v2, v8
	v_mul_hi_u32 v12, v2, v8
	v_mul_hi_u32 v13, v7, v9
	v_mul_lo_u32 v9, v7, v9
	v_mul_hi_u32 v14, v7, v8
	v_mul_lo_u32 v8, v7, v8
	v_add_co_u32 v10, vcc_lo, v10, v11
	v_add_co_ci_u32_e32 v11, vcc_lo, 0, v12, vcc_lo
	s_delay_alu instid0(VALU_DEP_2) | instskip(NEXT) | instid1(VALU_DEP_2)
	v_add_co_u32 v9, vcc_lo, v10, v9
	v_add_co_ci_u32_e32 v9, vcc_lo, v11, v13, vcc_lo
	v_add_co_ci_u32_e32 v10, vcc_lo, 0, v14, vcc_lo
	s_delay_alu instid0(VALU_DEP_2) | instskip(NEXT) | instid1(VALU_DEP_2)
	v_add_co_u32 v8, vcc_lo, v9, v8
	v_add_co_ci_u32_e32 v9, vcc_lo, 0, v10, vcc_lo
	s_delay_alu instid0(VALU_DEP_2) | instskip(NEXT) | instid1(VALU_DEP_2)
	v_add_co_u32 v2, vcc_lo, v2, v8
	v_add_co_ci_u32_e32 v7, vcc_lo, v7, v9, vcc_lo
	s_delay_alu instid0(VALU_DEP_2) | instskip(SKIP_1) | instid1(VALU_DEP_3)
	v_mul_hi_u32 v8, s2, v2
	v_mul_lo_u32 v10, s22, v2
	v_mul_lo_u32 v9, s2, v7
	s_delay_alu instid0(VALU_DEP_1) | instskip(SKIP_1) | instid1(VALU_DEP_2)
	v_add_nc_u32_e32 v8, v8, v9
	v_mul_lo_u32 v9, s2, v2
	v_add_nc_u32_e32 v8, v8, v10
	s_delay_alu instid0(VALU_DEP_2) | instskip(NEXT) | instid1(VALU_DEP_2)
	v_mul_hi_u32 v10, v2, v9
	v_mul_lo_u32 v11, v2, v8
	v_mul_hi_u32 v12, v2, v8
	v_mul_hi_u32 v13, v7, v9
	v_mul_lo_u32 v9, v7, v9
	v_mul_hi_u32 v14, v7, v8
	v_mul_lo_u32 v8, v7, v8
	v_add_co_u32 v10, vcc_lo, v10, v11
	v_add_co_ci_u32_e32 v11, vcc_lo, 0, v12, vcc_lo
	s_delay_alu instid0(VALU_DEP_2) | instskip(NEXT) | instid1(VALU_DEP_2)
	v_add_co_u32 v9, vcc_lo, v10, v9
	v_add_co_ci_u32_e32 v9, vcc_lo, v11, v13, vcc_lo
	v_add_co_ci_u32_e32 v10, vcc_lo, 0, v14, vcc_lo
	s_delay_alu instid0(VALU_DEP_2) | instskip(NEXT) | instid1(VALU_DEP_2)
	v_add_co_u32 v8, vcc_lo, v9, v8
	v_add_co_ci_u32_e32 v9, vcc_lo, 0, v10, vcc_lo
	s_delay_alu instid0(VALU_DEP_2) | instskip(NEXT) | instid1(VALU_DEP_2)
	v_add_co_u32 v2, vcc_lo, v2, v8
	v_add_co_ci_u32_e32 v13, vcc_lo, v7, v9, vcc_lo
	s_delay_alu instid0(VALU_DEP_2) | instskip(SKIP_1) | instid1(VALU_DEP_3)
	v_mul_hi_u32 v14, v5, v2
	v_mad_u64_u32 v[9:10], null, v6, v2, 0
	v_mad_u64_u32 v[7:8], null, v5, v13, 0
	;; [unrolled: 1-line block ×3, first 2 shown]
	s_delay_alu instid0(VALU_DEP_2) | instskip(NEXT) | instid1(VALU_DEP_3)
	v_add_co_u32 v2, vcc_lo, v14, v7
	v_add_co_ci_u32_e32 v7, vcc_lo, 0, v8, vcc_lo
	s_delay_alu instid0(VALU_DEP_2) | instskip(NEXT) | instid1(VALU_DEP_2)
	v_add_co_u32 v2, vcc_lo, v2, v9
	v_add_co_ci_u32_e32 v2, vcc_lo, v7, v10, vcc_lo
	v_add_co_ci_u32_e32 v7, vcc_lo, 0, v12, vcc_lo
	s_delay_alu instid0(VALU_DEP_2) | instskip(NEXT) | instid1(VALU_DEP_2)
	v_add_co_u32 v2, vcc_lo, v2, v11
	v_add_co_ci_u32_e32 v9, vcc_lo, 0, v7, vcc_lo
	s_delay_alu instid0(VALU_DEP_2) | instskip(SKIP_1) | instid1(VALU_DEP_3)
	v_mul_lo_u32 v10, s21, v2
	v_mad_u64_u32 v[7:8], null, s20, v2, 0
	v_mul_lo_u32 v11, s20, v9
	s_delay_alu instid0(VALU_DEP_2) | instskip(NEXT) | instid1(VALU_DEP_2)
	v_sub_co_u32 v7, vcc_lo, v5, v7
	v_add3_u32 v8, v8, v11, v10
	s_delay_alu instid0(VALU_DEP_1) | instskip(NEXT) | instid1(VALU_DEP_1)
	v_sub_nc_u32_e32 v10, v6, v8
	v_subrev_co_ci_u32_e64 v10, s2, s21, v10, vcc_lo
	v_add_co_u32 v11, s2, v2, 2
	s_delay_alu instid0(VALU_DEP_1) | instskip(SKIP_3) | instid1(VALU_DEP_3)
	v_add_co_ci_u32_e64 v12, s2, 0, v9, s2
	v_sub_co_u32 v13, s2, v7, s20
	v_sub_co_ci_u32_e32 v8, vcc_lo, v6, v8, vcc_lo
	v_subrev_co_ci_u32_e64 v10, s2, 0, v10, s2
	v_cmp_le_u32_e32 vcc_lo, s20, v13
	s_delay_alu instid0(VALU_DEP_3) | instskip(SKIP_1) | instid1(VALU_DEP_4)
	v_cmp_eq_u32_e64 s2, s21, v8
	v_cndmask_b32_e64 v13, 0, -1, vcc_lo
	v_cmp_le_u32_e32 vcc_lo, s21, v10
	v_cndmask_b32_e64 v14, 0, -1, vcc_lo
	v_cmp_le_u32_e32 vcc_lo, s20, v7
	;; [unrolled: 2-line block ×3, first 2 shown]
	v_cndmask_b32_e64 v15, 0, -1, vcc_lo
	v_cmp_eq_u32_e32 vcc_lo, s21, v10
	s_delay_alu instid0(VALU_DEP_2) | instskip(SKIP_3) | instid1(VALU_DEP_3)
	v_cndmask_b32_e64 v7, v15, v7, s2
	v_cndmask_b32_e32 v10, v14, v13, vcc_lo
	v_add_co_u32 v13, vcc_lo, v2, 1
	v_add_co_ci_u32_e32 v14, vcc_lo, 0, v9, vcc_lo
	v_cmp_ne_u32_e32 vcc_lo, 0, v10
	s_delay_alu instid0(VALU_DEP_2) | instskip(NEXT) | instid1(VALU_DEP_4)
	v_cndmask_b32_e32 v8, v14, v12, vcc_lo
	v_cndmask_b32_e32 v10, v13, v11, vcc_lo
	v_cmp_ne_u32_e32 vcc_lo, 0, v7
	s_delay_alu instid0(VALU_DEP_2)
	v_dual_cndmask_b32 v7, v2, v10 :: v_dual_cndmask_b32 v8, v9, v8
.LBB0_4:                                ;   in Loop: Header=BB0_2 Depth=1
	s_and_not1_saveexec_b32 s2, s3
	s_cbranch_execz .LBB0_6
; %bb.5:                                ;   in Loop: Header=BB0_2 Depth=1
	v_cvt_f32_u32_e32 v2, s20
	s_sub_i32 s3, 0, s20
	s_delay_alu instid0(VALU_DEP_1) | instskip(SKIP_2) | instid1(VALU_DEP_1)
	v_rcp_iflag_f32_e32 v2, v2
	s_waitcnt_depctr 0xfff
	v_mul_f32_e32 v2, 0x4f7ffffe, v2
	v_cvt_u32_f32_e32 v2, v2
	s_delay_alu instid0(VALU_DEP_1) | instskip(NEXT) | instid1(VALU_DEP_1)
	v_mul_lo_u32 v7, s3, v2
	v_mul_hi_u32 v7, v2, v7
	s_delay_alu instid0(VALU_DEP_1) | instskip(NEXT) | instid1(VALU_DEP_1)
	v_add_nc_u32_e32 v2, v2, v7
	v_mul_hi_u32 v2, v5, v2
	s_delay_alu instid0(VALU_DEP_1) | instskip(SKIP_1) | instid1(VALU_DEP_2)
	v_mul_lo_u32 v7, v2, s20
	v_add_nc_u32_e32 v8, 1, v2
	v_sub_nc_u32_e32 v7, v5, v7
	s_delay_alu instid0(VALU_DEP_1) | instskip(SKIP_1) | instid1(VALU_DEP_2)
	v_subrev_nc_u32_e32 v9, s20, v7
	v_cmp_le_u32_e32 vcc_lo, s20, v7
	v_dual_cndmask_b32 v7, v7, v9 :: v_dual_cndmask_b32 v2, v2, v8
	s_delay_alu instid0(VALU_DEP_1) | instskip(NEXT) | instid1(VALU_DEP_2)
	v_cmp_le_u32_e32 vcc_lo, s20, v7
	v_add_nc_u32_e32 v8, 1, v2
	s_delay_alu instid0(VALU_DEP_1)
	v_dual_cndmask_b32 v7, v2, v8 :: v_dual_mov_b32 v8, v1
.LBB0_6:                                ;   in Loop: Header=BB0_2 Depth=1
	s_or_b32 exec_lo, exec_lo, s2
	s_load_b64 s[2:3], s[14:15], 0x0
	s_delay_alu instid0(VALU_DEP_1) | instskip(NEXT) | instid1(VALU_DEP_2)
	v_mul_lo_u32 v2, v8, s20
	v_mul_lo_u32 v11, v7, s21
	v_mad_u64_u32 v[9:10], null, v7, s20, 0
	s_add_u32 s18, s18, 1
	s_addc_u32 s19, s19, 0
	s_add_u32 s14, s14, 8
	s_addc_u32 s15, s15, 0
	;; [unrolled: 2-line block ×3, first 2 shown]
	s_delay_alu instid0(VALU_DEP_1) | instskip(SKIP_1) | instid1(VALU_DEP_2)
	v_add3_u32 v2, v10, v11, v2
	v_sub_co_u32 v9, vcc_lo, v5, v9
	v_sub_co_ci_u32_e32 v2, vcc_lo, v6, v2, vcc_lo
	s_waitcnt lgkmcnt(0)
	s_delay_alu instid0(VALU_DEP_2) | instskip(NEXT) | instid1(VALU_DEP_2)
	v_mul_lo_u32 v10, s3, v9
	v_mul_lo_u32 v2, s2, v2
	v_mad_u64_u32 v[5:6], null, s2, v9, v[3:4]
	v_cmp_ge_u64_e64 s2, s[18:19], s[6:7]
	s_delay_alu instid0(VALU_DEP_1) | instskip(NEXT) | instid1(VALU_DEP_2)
	s_and_b32 vcc_lo, exec_lo, s2
	v_add3_u32 v4, v10, v6, v2
	s_delay_alu instid0(VALU_DEP_3)
	v_mov_b32_e32 v3, v5
	s_cbranch_vccnz .LBB0_9
; %bb.7:                                ;   in Loop: Header=BB0_2 Depth=1
	v_dual_mov_b32 v5, v7 :: v_dual_mov_b32 v6, v8
	s_branch .LBB0_2
.LBB0_8:
	v_dual_mov_b32 v8, v6 :: v_dual_mov_b32 v7, v5
.LBB0_9:
	s_lshl_b64 s[2:3], s[6:7], 3
	v_mul_hi_u32 v1, 0x4924925, v0
	s_add_u32 s2, s12, s2
	s_addc_u32 s3, s13, s3
	s_load_b64 s[0:1], s[0:1], 0x20
	s_load_b64 s[2:3], s[2:3], 0x0
                                        ; implicit-def: $vgpr176
                                        ; implicit-def: $vgpr177
                                        ; implicit-def: $vgpr234
                                        ; implicit-def: $vgpr228
                                        ; implicit-def: $vgpr206
                                        ; implicit-def: $vgpr216
                                        ; implicit-def: $vgpr255
	s_delay_alu instid0(VALU_DEP_1) | instskip(NEXT) | instid1(VALU_DEP_1)
	v_mul_u32_u24_e32 v1, 56, v1
	v_sub_nc_u32_e32 v217, v0, v1
	s_waitcnt lgkmcnt(0)
	v_cmp_gt_u64_e32 vcc_lo, s[0:1], v[7:8]
	v_mul_lo_u32 v2, s2, v8
	v_mul_lo_u32 v5, s3, v7
	v_mad_u64_u32 v[0:1], null, s2, v7, v[3:4]
	v_cmp_le_u64_e64 s0, s[0:1], v[7:8]
	v_add_nc_u32_e32 v3, 0x150, v217
	scratch_store_b32 off, v3, off offset:88 ; 4-byte Folded Spill
	v_add3_u32 v1, v5, v1, v2
                                        ; implicit-def: $vgpr2
                                        ; kill: killed $vgpr2
	s_and_saveexec_b32 s1, s0
	s_delay_alu instid0(SALU_CYCLE_1)
	s_xor_b32 s0, exec_lo, s1
	s_cbranch_execz .LBB0_11
; %bb.10:
	v_add_nc_u32_e32 v176, 56, v217
	v_add_nc_u32_e32 v177, 0x70, v217
	;; [unrolled: 1-line block ×7, first 2 shown]
	v_or_b32_e32 v255, 0x1c0, v217
	scratch_store_b32 off, v2, off          ; 4-byte Folded Spill
.LBB0_11:
	s_or_saveexec_b32 s1, s0
	v_lshlrev_b64 v[0:1], 4, v[0:1]
                                        ; implicit-def: $vgpr4_vgpr5
                                        ; implicit-def: $vgpr12_vgpr13
                                        ; implicit-def: $vgpr28_vgpr29
                                        ; implicit-def: $vgpr44_vgpr45
                                        ; implicit-def: $vgpr32_vgpr33
                                        ; implicit-def: $vgpr52_vgpr53
                                        ; implicit-def: $vgpr36_vgpr37
                                        ; implicit-def: $vgpr64_vgpr65
                                        ; implicit-def: $vgpr48_vgpr49
                                        ; implicit-def: $vgpr72_vgpr73
                                        ; implicit-def: $vgpr56_vgpr57
                                        ; implicit-def: $vgpr100_vgpr101
                                        ; implicit-def: $vgpr60_vgpr61
                                        ; implicit-def: $vgpr104_vgpr105
                                        ; implicit-def: $vgpr68_vgpr69
                                        ; implicit-def: $vgpr108_vgpr109
                                        ; implicit-def: $vgpr24_vgpr25
                                        ; implicit-def: $vgpr112_vgpr113
                                        ; implicit-def: $vgpr144_vgpr145
                                        ; implicit-def: $vgpr20_vgpr21
                                        ; implicit-def: $vgpr140_vgpr141
                                        ; implicit-def: $vgpr96_vgpr97
                                        ; implicit-def: $vgpr136_vgpr137
                                        ; implicit-def: $vgpr92_vgpr93
                                        ; implicit-def: $vgpr132_vgpr133
                                        ; implicit-def: $vgpr88_vgpr89
                                        ; implicit-def: $vgpr128_vgpr129
                                        ; implicit-def: $vgpr84_vgpr85
                                        ; implicit-def: $vgpr124_vgpr125
                                        ; implicit-def: $vgpr80_vgpr81
                                        ; implicit-def: $vgpr120_vgpr121
                                        ; implicit-def: $vgpr76_vgpr77
                                        ; implicit-def: $vgpr116_vgpr117
                                        ; implicit-def: $vgpr40_vgpr41
                                        ; implicit-def: $vgpr16_vgpr17
                                        ; implicit-def: $vgpr8_vgpr9
	scratch_store_b64 off, v[0:1], off offset:64 ; 8-byte Folded Spill
	s_xor_b32 exec_lo, exec_lo, s1
	s_cbranch_execz .LBB0_15
; %bb.12:
	v_add_nc_u32_e32 v8, 0x3d4, v217
	v_mad_u64_u32 v[0:1], null, s8, v217, 0
	v_add_nc_u32_e32 v31, 0x40c, v217
	v_add_nc_u32_e32 v33, 0x5f6, v217
	s_delay_alu instid0(VALU_DEP_4) | instskip(SKIP_1) | instid1(VALU_DEP_4)
	v_mad_u64_u32 v[10:11], null, s8, v8, 0
	v_add_nc_u32_e32 v7, 0x1ea, v217
	v_mad_u64_u32 v[24:25], null, s8, v31, 0
	v_add_nc_u32_e32 v15, 56, v217
	v_add_nc_u32_e32 v35, 0x25a, v217
	s_delay_alu instid0(VALU_DEP_4) | instskip(SKIP_1) | instid1(VALU_DEP_4)
	v_mad_u64_u32 v[2:3], null, s8, v7, 0
	v_add_nc_u32_e32 v39, 0x62e, v217
	v_mad_u64_u32 v[18:19], null, s8, v15, 0
	v_add_nc_u32_e32 v9, 0x5be, v217
	v_add_nc_u32_e32 v40, 0xa8, v217
	;; [unrolled: 1-line block ×3, first 2 shown]
	v_mad_u64_u32 v[4:5], null, s9, v217, v[1:2]
	v_mov_b32_e32 v1, v3
	v_mad_u64_u32 v[12:13], null, s8, v9, 0
	v_or_b32_e32 v255, 0x1c0, v217
	v_add_nc_u32_e32 v16, 0x222, v217
	s_delay_alu instid0(VALU_DEP_4)
	v_mad_u64_u32 v[5:6], null, s9, v7, v[1:2]
	v_mov_b32_e32 v1, v4
	scratch_load_b64 v[3:4], off, off offset:64 ; 8-byte Folded Reload
	v_mad_u64_u32 v[22:23], null, s8, v16, 0
	s_mov_b32 s2, exec_lo
	v_lshlrev_b64 v[0:1], 4, v[0:1]
                                        ; implicit-def: $vgpr142_vgpr143
	v_add_nc_u32_e32 v34, 0x70, v217
	v_add_nc_u32_e32 v38, 0x444, v217
	;; [unrolled: 1-line block ×3, first 2 shown]
	s_waitcnt vmcnt(0)
	v_add_co_u32 v20, s0, s10, v3
	s_delay_alu instid0(VALU_DEP_1) | instskip(SKIP_2) | instid1(VALU_DEP_4)
	v_add_co_ci_u32_e64 v21, s0, s11, v4, s0
	v_dual_mov_b32 v4, v11 :: v_dual_mov_b32 v3, v5
	v_mov_b32_e32 v5, v13
	v_add_co_u32 v0, s0, v20, v0
	s_delay_alu instid0(VALU_DEP_1) | instskip(NEXT) | instid1(VALU_DEP_3)
	v_add_co_ci_u32_e64 v1, s0, v21, v1, s0
	v_mad_u64_u32 v[6:7], null, s9, v8, v[4:5]
	v_lshlrev_b64 v[2:3], 4, v[2:3]
	s_delay_alu instid0(VALU_DEP_2) | instskip(NEXT) | instid1(VALU_DEP_2)
	v_mad_u64_u32 v[13:14], null, s9, v9, v[5:6]
	v_add_co_u32 v2, s0, v20, v2
	v_mov_b32_e32 v11, v6
	s_delay_alu instid0(VALU_DEP_4)
	v_add_co_ci_u32_e64 v3, s0, v21, v3, s0
	s_clause 0x1
	global_load_b128 v[6:9], v[0:1], off
	global_load_b128 v[2:5], v[2:3], off
	v_lshlrev_b64 v[0:1], 4, v[10:11]
	v_lshlrev_b64 v[11:12], 4, v[12:13]
	v_mov_b32_e32 v10, v19
	s_delay_alu instid0(VALU_DEP_3) | instskip(NEXT) | instid1(VALU_DEP_2)
	v_add_co_u32 v0, s0, v20, v0
	v_mad_u64_u32 v[13:14], null, s9, v15, v[10:11]
	v_mov_b32_e32 v10, v23
	v_add_co_ci_u32_e64 v1, s0, v21, v1, s0
	v_add_co_u32 v14, s0, v20, v11
	s_delay_alu instid0(VALU_DEP_3)
	v_mad_u64_u32 v[26:27], null, s9, v16, v[10:11]
	v_mov_b32_e32 v19, v13
	v_add_co_ci_u32_e64 v15, s0, v21, v12, s0
	s_clause 0x1
	global_load_b128 v[10:13], v[0:1], off
	global_load_b128 v[14:17], v[14:15], off
	v_mov_b32_e32 v0, v25
	v_lshlrev_b64 v[18:19], 4, v[18:19]
	v_mad_u64_u32 v[27:28], null, s8, v33, 0
	v_mov_b32_e32 v23, v26
	s_delay_alu instid0(VALU_DEP_4) | instskip(NEXT) | instid1(VALU_DEP_4)
	v_mad_u64_u32 v[29:30], null, s9, v31, v[0:1]
	v_add_co_u32 v0, s0, v20, v18
	s_delay_alu instid0(VALU_DEP_1) | instskip(NEXT) | instid1(VALU_DEP_4)
	v_add_co_ci_u32_e64 v1, s0, v21, v19, s0
	v_lshlrev_b64 v[18:19], 4, v[22:23]
	s_delay_alu instid0(VALU_DEP_4) | instskip(SKIP_1) | instid1(VALU_DEP_2)
	v_dual_mov_b32 v22, v28 :: v_dual_mov_b32 v25, v29
	v_mad_u64_u32 v[29:30], null, s8, v34, 0
	v_mad_u64_u32 v[31:32], null, s9, v33, v[22:23]
	s_delay_alu instid0(VALU_DEP_3) | instskip(SKIP_1) | instid1(VALU_DEP_4)
	v_lshlrev_b64 v[22:23], 4, v[24:25]
	v_mad_u64_u32 v[25:26], null, s8, v35, 0
	v_mov_b32_e32 v24, v30
	v_add_co_u32 v18, s0, v20, v18
	v_mov_b32_e32 v28, v31
	v_add_co_ci_u32_e64 v19, s0, v21, v19, s0
	s_delay_alu instid0(VALU_DEP_4) | instskip(NEXT) | instid1(VALU_DEP_3)
	v_mad_u64_u32 v[30:31], null, s9, v34, v[24:25]
	v_lshlrev_b64 v[27:28], 4, v[27:28]
	v_mov_b32_e32 v24, v26
	v_add_co_u32 v22, s0, v20, v22
	v_mad_u64_u32 v[31:32], null, s8, v38, 0
	v_add_co_ci_u32_e64 v23, s0, v21, v23, s0
	s_delay_alu instid0(VALU_DEP_4) | instskip(SKIP_1) | instid1(VALU_DEP_4)
	v_mad_u64_u32 v[33:34], null, s9, v35, v[24:25]
	v_add_co_u32 v34, s0, v20, v27
	v_mov_b32_e32 v24, v32
	v_add_co_ci_u32_e64 v35, s0, v21, v28, s0
	v_lshlrev_b64 v[27:28], 4, v[29:30]
	v_mad_u64_u32 v[29:30], null, s8, v39, 0
	v_mov_b32_e32 v26, v33
	v_mad_u64_u32 v[36:37], null, s9, v38, v[24:25]
	s_delay_alu instid0(VALU_DEP_4) | instskip(NEXT) | instid1(VALU_DEP_1)
	v_add_co_u32 v46, s0, v20, v27
	v_add_co_ci_u32_e64 v47, s0, v21, v28, s0
	v_mad_u64_u32 v[27:28], null, s8, v40, 0
	v_lshlrev_b64 v[24:25], 4, v[25:26]
	v_mov_b32_e32 v26, v30
	v_dual_mov_b32 v32, v36 :: v_dual_add_nc_u32 v33, 0x292, v217
	s_delay_alu instid0(VALU_DEP_2) | instskip(SKIP_1) | instid1(VALU_DEP_3)
	v_mad_u64_u32 v[36:37], null, s9, v39, v[26:27]
	v_mov_b32_e32 v26, v28
	v_lshlrev_b64 v[31:32], 4, v[31:32]
	v_add_co_u32 v24, s0, v20, v24
	s_delay_alu instid0(VALU_DEP_1)
	v_add_co_ci_u32_e64 v25, s0, v21, v25, s0
	v_mov_b32_e32 v30, v36
	v_mad_u64_u32 v[36:37], null, s8, v33, 0
	v_mad_u64_u32 v[38:39], null, s9, v40, v[26:27]
	v_add_nc_u32_e32 v39, 0x47c, v217
	v_add_co_u32 v48, s0, v20, v31
	s_delay_alu instid0(VALU_DEP_1) | instskip(NEXT) | instid1(VALU_DEP_3)
	v_add_co_ci_u32_e64 v49, s0, v21, v32, s0
	v_mad_u64_u32 v[31:32], null, s8, v39, 0
	v_mov_b32_e32 v26, v37
	v_mov_b32_e32 v28, v38
	v_add_nc_u32_e32 v40, 0x666, v217
	s_delay_alu instid0(VALU_DEP_3) | instskip(NEXT) | instid1(VALU_DEP_3)
	v_mad_u64_u32 v[37:38], null, s9, v33, v[26:27]
	v_lshlrev_b64 v[27:28], 4, v[27:28]
	v_mov_b32_e32 v26, v32
	s_delay_alu instid0(VALU_DEP_1) | instskip(SKIP_2) | instid1(VALU_DEP_1)
	v_mad_u64_u32 v[32:33], null, s9, v39, v[26:27]
	v_add_nc_u32_e32 v33, 0xe0, v217
	v_lshlrev_b64 v[29:30], 4, v[29:30]
	v_add_co_u32 v54, s0, v20, v29
	s_delay_alu instid0(VALU_DEP_1) | instskip(SKIP_2) | instid1(VALU_DEP_1)
	v_add_co_ci_u32_e64 v55, s0, v21, v30, s0
	v_mad_u64_u32 v[29:30], null, s8, v40, 0
	v_add_co_u32 v56, s0, v20, v27
	v_add_co_ci_u32_e64 v57, s0, v21, v28, s0
	v_lshlrev_b64 v[26:27], 4, v[36:37]
	v_mad_u64_u32 v[36:37], null, s8, v33, 0
	v_mov_b32_e32 v28, v30
	s_delay_alu instid0(VALU_DEP_3) | instskip(NEXT) | instid1(VALU_DEP_2)
	v_add_co_u32 v58, s0, v20, v26
	v_mad_u64_u32 v[38:39], null, s9, v40, v[28:29]
	v_add_nc_u32_e32 v39, 0x2ca, v217
	v_add_co_ci_u32_e64 v59, s0, v21, v27, s0
	v_lshlrev_b64 v[26:27], 4, v[31:32]
	v_mov_b32_e32 v28, v37
	s_delay_alu instid0(VALU_DEP_4)
	v_mad_u64_u32 v[31:32], null, s8, v39, 0
	v_mov_b32_e32 v30, v38
	v_add_nc_u32_e32 v40, 0x4b4, v217
	v_add_co_u32 v60, s0, v20, v26
	v_mad_u64_u32 v[37:38], null, s9, v33, v[28:29]
	v_add_co_ci_u32_e64 v61, s0, v21, v27, s0
	v_lshlrev_b64 v[26:27], 4, v[29:30]
	v_mad_u64_u32 v[29:30], null, s8, v40, 0
	v_mov_b32_e32 v28, v32
	s_delay_alu instid0(VALU_DEP_3) | instskip(NEXT) | instid1(VALU_DEP_1)
	v_add_co_u32 v66, s0, v20, v26
	v_add_co_ci_u32_e64 v67, s0, v21, v27, s0
	s_delay_alu instid0(VALU_DEP_3) | instskip(SKIP_2) | instid1(VALU_DEP_1)
	v_mad_u64_u32 v[32:33], null, s9, v39, v[28:29]
	v_lshlrev_b64 v[27:28], 4, v[36:37]
	v_dual_mov_b32 v26, v30 :: v_dual_add_nc_u32 v33, 0x69e, v217
	v_mad_u64_u32 v[36:37], null, s8, v33, 0
	s_delay_alu instid0(VALU_DEP_2)
	v_mad_u64_u32 v[38:39], null, s9, v40, v[26:27]
	v_add_nc_u32_e32 v39, 0x118, v217
	v_add_co_u32 v68, s0, v20, v27
	v_lshlrev_b64 v[26:27], 4, v[31:32]
	v_add_co_ci_u32_e64 v69, s0, v21, v28, s0
	v_mov_b32_e32 v28, v37
	v_mov_b32_e32 v30, v38
	v_mad_u64_u32 v[31:32], null, s8, v39, 0
	v_add_nc_u32_e32 v40, 0x302, v217
	v_add_co_u32 v70, s0, v20, v26
	v_mad_u64_u32 v[37:38], null, s9, v33, v[28:29]
	v_add_co_ci_u32_e64 v71, s0, v21, v27, s0
	v_lshlrev_b64 v[26:27], 4, v[29:30]
	v_mad_u64_u32 v[29:30], null, s8, v40, 0
	v_mov_b32_e32 v28, v32
	s_delay_alu instid0(VALU_DEP_3) | instskip(NEXT) | instid1(VALU_DEP_1)
	v_add_co_u32 v72, s0, v20, v26
	v_add_co_ci_u32_e64 v73, s0, v21, v27, s0
	s_delay_alu instid0(VALU_DEP_3) | instskip(SKIP_3) | instid1(VALU_DEP_3)
	v_mad_u64_u32 v[32:33], null, s9, v39, v[28:29]
	v_add_nc_u32_e32 v33, 0x4ec, v217
	v_lshlrev_b64 v[26:27], 4, v[36:37]
	v_mov_b32_e32 v28, v30
	v_mad_u64_u32 v[36:37], null, s8, v33, 0
	s_delay_alu instid0(VALU_DEP_3) | instskip(NEXT) | instid1(VALU_DEP_3)
	v_add_co_u32 v86, s0, v20, v26
	v_mad_u64_u32 v[38:39], null, s9, v40, v[28:29]
	v_add_co_ci_u32_e64 v87, s0, v21, v27, s0
	v_lshlrev_b64 v[27:28], 4, v[31:32]
	v_mov_b32_e32 v26, v37
	v_mad_u64_u32 v[31:32], null, s8, v41, 0
	v_mov_b32_e32 v30, v38
	s_delay_alu instid0(VALU_DEP_3) | instskip(SKIP_2) | instid1(VALU_DEP_4)
	v_mad_u64_u32 v[39:40], null, s9, v33, v[26:27]
	v_add_nc_u32_e32 v40, 0x150, v217
	v_add_co_u32 v88, s0, v20, v27
	v_lshlrev_b64 v[26:27], 4, v[29:30]
	v_add_co_ci_u32_e64 v89, s0, v21, v28, s0
	s_delay_alu instid0(VALU_DEP_4) | instskip(SKIP_1) | instid1(VALU_DEP_4)
	v_mad_u64_u32 v[29:30], null, s8, v40, 0
	v_dual_mov_b32 v28, v32 :: v_dual_mov_b32 v37, v39
	v_add_co_u32 v90, s0, v20, v26
	s_delay_alu instid0(VALU_DEP_1) | instskip(NEXT) | instid1(VALU_DEP_3)
	v_add_co_ci_u32_e64 v91, s0, v21, v27, s0
	v_mad_u64_u32 v[32:33], null, s9, v41, v[28:29]
	v_dual_mov_b32 v28, v30 :: v_dual_add_nc_u32 v33, 0x33a, v217
	v_lshlrev_b64 v[26:27], 4, v[36:37]
	v_add_nc_u32_e32 v41, 0x55c, v217
	s_delay_alu instid0(VALU_DEP_3) | instskip(NEXT) | instid1(VALU_DEP_4)
	v_mad_u64_u32 v[36:37], null, s8, v33, 0
	v_mad_u64_u32 v[38:39], null, s9, v40, v[28:29]
	s_delay_alu instid0(VALU_DEP_4)
	v_add_co_u32 v92, s0, v20, v26
	v_add_nc_u32_e32 v39, 0x524, v217
	v_add_co_ci_u32_e64 v93, s0, v21, v27, s0
	v_lshlrev_b64 v[26:27], 4, v[31:32]
	v_mov_b32_e32 v28, v37
	v_mov_b32_e32 v30, v38
	v_mad_u64_u32 v[31:32], null, s8, v39, 0
	v_add_nc_u32_e32 v40, 0x70e, v217
	v_add_co_u32 v94, s0, v20, v26
	v_mad_u64_u32 v[37:38], null, s9, v33, v[28:29]
	v_add_co_ci_u32_e64 v95, s0, v21, v27, s0
	v_lshlrev_b64 v[26:27], 4, v[29:30]
	v_mad_u64_u32 v[29:30], null, s8, v40, 0
	v_mov_b32_e32 v28, v32
	v_mad_u64_u32 v[42:43], null, s8, v41, 0
	s_delay_alu instid0(VALU_DEP_4) | instskip(NEXT) | instid1(VALU_DEP_1)
	v_add_co_u32 v96, s0, v20, v26
	v_add_co_ci_u32_e64 v97, s0, v21, v27, s0
	s_delay_alu instid0(VALU_DEP_4) | instskip(SKIP_3) | instid1(VALU_DEP_3)
	v_mad_u64_u32 v[32:33], null, s9, v39, v[28:29]
	v_add_nc_u32_e32 v33, 0x188, v217
	v_lshlrev_b64 v[27:28], 4, v[36:37]
	v_mov_b32_e32 v26, v30
	v_mad_u64_u32 v[36:37], null, s8, v33, 0
	s_delay_alu instid0(VALU_DEP_3) | instskip(NEXT) | instid1(VALU_DEP_3)
	v_add_co_u32 v102, s0, v20, v27
	v_mad_u64_u32 v[38:39], null, s9, v40, v[26:27]
	v_add_co_ci_u32_e64 v103, s0, v21, v28, s0
	s_delay_alu instid0(VALU_DEP_4) | instskip(SKIP_3) | instid1(VALU_DEP_4)
	v_mov_b32_e32 v28, v37
	v_add_nc_u32_e32 v40, 0x372, v217
	v_lshlrev_b64 v[26:27], 4, v[31:32]
	v_mov_b32_e32 v30, v38
	v_mad_u64_u32 v[31:32], null, s9, v33, v[28:29]
	s_delay_alu instid0(VALU_DEP_4) | instskip(NEXT) | instid1(VALU_DEP_4)
	v_mad_u64_u32 v[32:33], null, s8, v40, 0
	v_add_co_u32 v104, s0, v20, v26
	s_delay_alu instid0(VALU_DEP_1) | instskip(SKIP_4) | instid1(VALU_DEP_4)
	v_add_co_ci_u32_e64 v105, s0, v21, v27, s0
	v_lshlrev_b64 v[26:27], 4, v[29:30]
	v_mov_b32_e32 v37, v31
	v_mad_u64_u32 v[30:31], null, s8, v44, 0
	v_dual_mov_b32 v28, v33 :: v_dual_mov_b32 v29, v43
	v_add_co_u32 v106, s0, v20, v26
	s_delay_alu instid0(VALU_DEP_1) | instskip(NEXT) | instid1(VALU_DEP_3)
	v_add_co_ci_u32_e64 v107, s0, v21, v27, s0
	v_mad_u64_u32 v[38:39], null, s9, v40, v[28:29]
	v_lshlrev_b64 v[27:28], 4, v[36:37]
	v_mov_b32_e32 v26, v31
	v_mad_u64_u32 v[39:40], null, s9, v41, v[29:30]
	s_delay_alu instid0(VALU_DEP_2) | instskip(SKIP_2) | instid1(VALU_DEP_4)
	v_mad_u64_u32 v[36:37], null, s9, v44, v[26:27]
	v_mov_b32_e32 v33, v38
	v_add_co_u32 v108, s0, v20, v27
	v_mov_b32_e32 v43, v39
	v_add_co_ci_u32_e64 v109, s0, v21, v28, s0
	v_mov_b32_e32 v31, v36
	v_lshlrev_b64 v[32:33], 4, v[32:33]
	s_clause 0x1
	global_load_b128 v[38:41], v[0:1], off
	global_load_b128 v[26:29], v[18:19], off
	v_lshlrev_b64 v[0:1], 4, v[42:43]
	v_lshlrev_b64 v[30:31], 4, v[30:31]
	v_add_co_u32 v18, s0, v20, v32
	s_delay_alu instid0(VALU_DEP_1) | instskip(NEXT) | instid1(VALU_DEP_4)
	v_add_co_ci_u32_e64 v19, s0, v21, v33, s0
	v_add_co_u32 v0, s0, v20, v0
	s_delay_alu instid0(VALU_DEP_1) | instskip(SKIP_1) | instid1(VALU_DEP_1)
	v_add_co_ci_u32_e64 v1, s0, v21, v1, s0
	v_add_co_u32 v110, s0, v20, v30
	v_add_co_ci_u32_e64 v111, s0, v21, v31, s0
	s_clause 0x19
	global_load_b128 v[42:45], v[22:23], off
	global_load_b128 v[114:117], v[34:35], off
	;; [unrolled: 1-line block ×26, first 2 shown]
                                        ; implicit-def: $vgpr18_vgpr19
                                        ; implicit-def: $vgpr110_vgpr111
                                        ; implicit-def: $vgpr22_vgpr23
	v_cmpx_gt_u32_e32 0x1ea, v255
	s_cbranch_execz .LBB0_14
; %bb.13:
	v_add_nc_u32_e32 v113, 0x3aa, v217
	v_add_nc_u32_e32 v142, 0x594, v217
	v_mad_u64_u32 v[0:1], null, s8, v255, 0
	v_add_nc_u32_e32 v144, 0x77e, v217
	s_delay_alu instid0(VALU_DEP_4) | instskip(NEXT) | instid1(VALU_DEP_4)
	v_mad_u64_u32 v[18:19], null, s8, v113, 0
	v_mad_u64_u32 v[22:23], null, s8, v142, 0
	s_delay_alu instid0(VALU_DEP_3) | instskip(SKIP_2) | instid1(VALU_DEP_4)
	v_mad_u64_u32 v[24:25], null, s8, v144, 0
	s_waitcnt vmcnt(30)
	v_mad_u64_u32 v[110:111], null, s9, v255, v[1:2]
	v_mad_u64_u32 v[111:112], null, s9, v113, v[19:20]
	s_delay_alu instid0(VALU_DEP_4) | instskip(NEXT) | instid1(VALU_DEP_4)
	v_mov_b32_e32 v1, v23
	v_mov_b32_e32 v23, v25
	s_delay_alu instid0(VALU_DEP_2) | instskip(SKIP_1) | instid1(VALU_DEP_3)
	v_mad_u64_u32 v[112:113], null, s9, v142, v[1:2]
	v_mov_b32_e32 v1, v110
	v_mad_u64_u32 v[142:143], null, s9, v144, v[23:24]
	v_mov_b32_e32 v19, v111
	s_delay_alu instid0(VALU_DEP_3) | instskip(SKIP_1) | instid1(VALU_DEP_3)
	v_lshlrev_b64 v[0:1], 4, v[0:1]
	v_mov_b32_e32 v23, v112
	v_lshlrev_b64 v[18:19], 4, v[18:19]
	v_mov_b32_e32 v25, v142
	s_delay_alu instid0(VALU_DEP_4) | instskip(NEXT) | instid1(VALU_DEP_4)
	v_add_co_u32 v0, s0, v20, v0
	v_lshlrev_b64 v[22:23], 4, v[22:23]
	v_add_co_ci_u32_e64 v1, s0, v21, v1, s0
	v_add_co_u32 v110, s0, v20, v18
	s_delay_alu instid0(VALU_DEP_1) | instskip(SKIP_2) | instid1(VALU_DEP_1)
	v_add_co_ci_u32_e64 v111, s0, v21, v19, s0
	v_lshlrev_b64 v[18:19], 4, v[24:25]
	v_add_co_u32 v112, s0, v20, v22
	v_add_co_ci_u32_e64 v113, s0, v21, v23, s0
	s_delay_alu instid0(VALU_DEP_3) | instskip(NEXT) | instid1(VALU_DEP_1)
	v_add_co_u32 v142, s0, v20, v18
	v_add_co_ci_u32_e64 v143, s0, v21, v19, s0
	s_clause 0x3
	global_load_b128 v[18:21], v[0:1], off
	global_load_b128 v[22:25], v[110:111], off
	;; [unrolled: 1-line block ×4, first 2 shown]
.LBB0_14:
	s_or_b32 exec_lo, exec_lo, s2
	v_add_nc_u32_e32 v216, 0x188, v217
	v_add_nc_u32_e32 v206, 0x150, v217
	;; [unrolled: 1-line block ×7, first 2 shown]
	scratch_store_b32 off, v0, off          ; 4-byte Folded Spill
.LBB0_15:
	s_or_b32 exec_lo, exec_lo, s1
	s_waitcnt vmcnt(29)
	v_add_f64 v[0:1], v[6:7], -v[10:11]
	s_waitcnt vmcnt(28)
	v_add_f64 v[10:11], v[2:3], -v[14:15]
	;; [unrolled: 2-line block ×7, first 2 shown]
	v_add_f64 v[130:131], v[4:5], -v[16:17]
	s_waitcnt vmcnt(4)
	v_add_f64 v[114:115], v[60:61], -v[136:137]
	s_waitcnt vmcnt(0)
	v_add_f64 v[70:71], v[24:25], -v[144:145]
	v_add_f64 v[186:187], v[78:79], -v[62:63]
	;; [unrolled: 1-line block ×16, first 2 shown]
	v_cmp_gt_u32_e64 s0, 42, v217
	v_fma_f64 v[6:7], v[6:7], 2.0, -v[0:1]
	v_fma_f64 v[2:3], v[2:3], 2.0, -v[10:11]
	;; [unrolled: 1-line block ×7, first 2 shown]
	v_add_f64 v[134:135], v[0:1], -v[130:131]
	v_fma_f64 v[78:79], v[78:79], 2.0, -v[186:187]
	v_fma_f64 v[46:47], v[46:47], 2.0, -v[62:63]
	;; [unrolled: 1-line block ×4, first 2 shown]
	v_add_f64 v[138:139], v[174:175], -v[126:127]
	v_add_f64 v[160:161], v[194:195], -v[116:117]
	v_fma_f64 v[74:75], v[74:75], 2.0, -v[182:183]
	v_fma_f64 v[30:31], v[30:31], 2.0, -v[42:43]
	;; [unrolled: 1-line block ×5, first 2 shown]
	v_add_f64 v[148:149], v[182:183], -v[122:123]
	v_add_f64 v[152:153], v[186:187], -v[120:121]
	;; [unrolled: 1-line block ×9, first 2 shown]
	v_fma_f64 v[172:173], v[0:1], 2.0, -v[134:135]
	v_add_f64 v[154:155], v[82:83], -v[46:47]
	v_add_f64 v[162:163], v[90:91], -v[58:59]
	v_fma_f64 v[180:181], v[174:175], 2.0, -v[138:139]
	v_fma_f64 v[196:197], v[194:195], 2.0, -v[160:161]
	v_add_f64 v[146:147], v[74:75], -v[30:31]
	v_add_f64 v[150:151], v[78:79], -v[34:35]
	;; [unrolled: 1-line block ×3, first 2 shown]
	v_fma_f64 v[184:185], v[182:183], 2.0, -v[148:149]
	v_fma_f64 v[188:189], v[186:187], 2.0, -v[152:153]
	;; [unrolled: 1-line block ×6, first 2 shown]
	v_add_f64 v[6:7], v[22:23], -v[142:143]
	v_fma_f64 v[178:179], v[38:39], 2.0, -v[136:137]
	v_add_f64 v[2:3], v[26:27], -v[70:71]
	v_fma_f64 v[194:195], v[86:87], 2.0, -v[158:159]
	v_lshl_add_u32 v87, v176, 5, 0
	v_fma_f64 v[190:191], v[82:83], 2.0, -v[154:155]
	v_lshl_add_u32 v83, v177, 5, 0
	;; [unrolled: 2-line block ×3, first 2 shown]
	v_lshl_add_u32 v82, v234, 5, 0
	v_fma_f64 v[182:183], v[74:75], 2.0, -v[146:147]
	v_fma_f64 v[186:187], v[78:79], 2.0, -v[150:151]
	v_lshl_add_u32 v79, v228, 5, 0
	v_fma_f64 v[202:203], v[94:95], 2.0, -v[166:167]
	v_lshl_add_u32 v78, v206, 5, 0
	v_lshl_add_u32 v75, v216, 5, 0
	;; [unrolled: 1-line block ×3, first 2 shown]
	scratch_store_b128 off, v[0:3], off offset:44 ; 16-byte Folded Spill
	scratch_load_b32 v0, off, off           ; 4-byte Folded Reload
	s_waitcnt vmcnt(0)
	v_lshl_add_u32 v86, v0, 5, 0
	ds_store_b128 v90, v[170:173]
	ds_store_b128 v90, v[132:135] offset:16
	ds_store_b128 v87, v[178:181]
	ds_store_b128 v87, v[136:139] offset:16
	;; [unrolled: 2-line block ×8, first 2 shown]
	s_and_saveexec_b32 s1, s0
	s_cbranch_execz .LBB0_17
; %bb.16:
	v_fma_f64 v[18:19], v[18:19], 2.0, -v[26:27]
	v_fma_f64 v[0:1], v[22:23], 2.0, -v[6:7]
	v_add_f64 v[138:139], v[26:27], -v[70:71]
	s_delay_alu instid0(VALU_DEP_2) | instskip(NEXT) | instid1(VALU_DEP_2)
	v_add_f64 v[136:137], v[18:19], -v[0:1]
	v_fma_f64 v[134:135], v[26:27], 2.0, -v[138:139]
	v_dual_mov_b32 v2, v138 :: v_dual_mov_b32 v3, v139
	scratch_store_b128 off, v[0:3], off offset:44 ; 16-byte Folded Spill
	v_fma_f64 v[132:133], v[18:19], 2.0, -v[136:137]
	ds_store_b128 v74, v[136:139] offset:16
	ds_store_b128 v74, v[132:135]
.LBB0_17:
	s_or_b32 exec_lo, exec_lo, s1
	v_add_f64 v[12:13], v[8:9], -v[12:13]
	v_add_f64 v[18:19], v[40:41], -v[44:45]
	v_fma_f64 v[0:1], v[4:5], 2.0, -v[130:131]
	scratch_store_b32 off, v206, off offset:60 ; 4-byte Folded Spill
	v_fma_f64 v[54:55], v[56:57], 2.0, -v[116:117]
	s_waitcnt lgkmcnt(0)
	s_waitcnt_vscnt null, 0x0
	s_barrier
	buffer_gl0_inv
	v_add_f64 v[26:27], v[76:77], -v[52:53]
	v_add_f64 v[44:45], v[92:93], -v[104:105]
	v_fma_f64 v[22:23], v[32:33], 2.0, -v[122:123]
	v_add_f64 v[30:31], v[80:81], -v[64:65]
	v_add_f64 v[34:35], v[84:85], -v[72:73]
	v_add_f64 v[38:39], v[88:89], -v[100:101]
	v_add_f64 v[46:47], v[96:97], -v[108:109]
	v_fma_f64 v[58:59], v[60:61], 2.0, -v[114:115]
	v_fma_f64 v[36:37], v[36:37], 2.0, -v[120:121]
	;; [unrolled: 1-line block ×4, first 2 shown]
	v_lshl_add_u32 v233, v217, 3, 0
	v_lshl_add_u32 v3, v234, 3, 0
	;; [unrolled: 1-line block ×3, first 2 shown]
	s_clause 0x1
	scratch_store_b32 off, v177, off offset:24
	scratch_store_b32 off, v234, off offset:36
	v_lshl_add_u32 v234, v228, 3, 0
	v_add_nc_u32_e32 v191, 0x1000, v233
	v_add_nc_u32_e32 v190, 0x1800, v233
	v_add_nc_u32_e32 v178, 0x2000, v233
	v_add_nc_u32_e32 v193, 0x2800, v233
	v_add_nc_u32_e32 v192, 0x3000, v233
	v_add_nc_u32_e32 v115, 0x2400, v233
	v_add_nc_u32_e32 v114, 0x3800, v233
	v_add_nc_u32_e32 v179, 0x1c00, v233
	v_fma_f64 v[4:5], v[8:9], 2.0, -v[12:13]
	v_fma_f64 v[8:9], v[28:29], 2.0, -v[126:127]
	;; [unrolled: 1-line block ×3, first 2 shown]
	v_add_f64 v[118:119], v[14:15], v[18:19]
	v_fma_f64 v[32:33], v[76:77], 2.0, -v[26:27]
	v_fma_f64 v[60:61], v[92:93], 2.0, -v[44:45]
	v_add_f64 v[93:94], v[10:11], v[12:13]
	v_fma_f64 v[40:41], v[80:81], 2.0, -v[30:31]
	v_fma_f64 v[52:53], v[84:85], 2.0, -v[34:35]
	;; [unrolled: 1-line block ×4, first 2 shown]
	v_add_f64 v[126:127], v[42:43], v[26:27]
	v_add_f64 v[130:131], v[50:51], v[30:31]
	;; [unrolled: 1-line block ×6, first 2 shown]
	v_add_nc_u32_e32 v102, 0x800, v233
	v_add_f64 v[91:92], v[4:5], -v[0:1]
	v_lshl_add_u32 v1, v176, 3, 0
	v_add_f64 v[116:117], v[28:29], -v[8:9]
	scratch_load_b32 v8, off, off           ; 4-byte Folded Reload
	v_fma_f64 v[150:151], v[18:19], 2.0, -v[118:119]
	v_add_f64 v[124:125], v[32:33], -v[22:23]
	v_add_f64 v[22:23], v[20:21], -v[112:113]
	ds_load_b64 v[112:113], v233
	v_add_f64 v[128:129], v[40:41], -v[36:37]
	v_add_f64 v[132:133], v[52:53], -v[48:49]
	;; [unrolled: 1-line block ×5, first 2 shown]
	v_fma_f64 v[146:147], v[12:13], 2.0, -v[93:94]
	v_fma_f64 v[154:155], v[26:27], 2.0, -v[126:127]
	;; [unrolled: 1-line block ×15, first 2 shown]
	s_waitcnt vmcnt(0)
	v_mad_i32_i24 v0, 0xffffffe8, v8, v86
	v_mul_i32_i24_e32 v88, 0xffffffe8, v8
	ds_load_b64 v[8:9], v3
	v_add_f64 v[3:4], v[6:7], v[22:23]
	s_clause 0x1
	scratch_store_b32 off, v176, off offset:20
	scratch_store_b32 off, v228, off offset:40
	s_waitcnt lgkmcnt(0)
	s_clause 0x1
	scratch_store_b64 off, v[8:9], off offset:72
	scratch_store_b128 off, v[1:4], off offset:4
	ds_load_b64 v[122:123], v0
	ds_load_b64 v[3:4], v234
	s_waitcnt lgkmcnt(0)
	s_clause 0x1
	scratch_store_b64 off, v[3:4], off offset:80
	scratch_store_b32 off, v2, off offset:32
	ds_load_b64 v[108:109], v2
	ds_load_b64 v[110:111], v1
	ds_load_b64 v[120:121], v233 offset:15232
	ds_load_2addr_b64 v[62:65], v191 offset0:48 offset1:104
	ds_load_2addr_b64 v[58:61], v190 offset0:16 offset1:72
	;; [unrolled: 1-line block ×10, first 2 shown]
	ds_load_2addr_b64 v[38:41], v114 offset1:56
	ds_load_2addr_b64 v[50:53], v102 offset0:192 offset1:248
	ds_load_2addr_b64 v[12:15], v179 offset0:112 offset1:168
	;; [unrolled: 1-line block ×3, first 2 shown]
	s_waitcnt lgkmcnt(0)
	s_waitcnt_vscnt null, 0x0
	s_barrier
	buffer_gl0_inv
	ds_store_b128 v90, v[144:147]
	ds_store_b128 v90, v[91:94] offset:16
	ds_store_b128 v87, v[148:151]
	ds_store_b128 v87, v[116:119] offset:16
	;; [unrolled: 2-line block ×8, first 2 shown]
	s_and_saveexec_b32 s1, s0
	s_cbranch_execz .LBB0_19
; %bb.18:
	v_fma_f64 v[4:5], v[24:25], 2.0, -v[70:71]
	scratch_load_b128 v[70:73], off, off offset:4 ; 16-byte Folded Reload
	v_fma_f64 v[20:21], v[20:21], 2.0, -v[22:23]
	s_delay_alu instid0(VALU_DEP_1) | instskip(NEXT) | instid1(VALU_DEP_1)
	v_add_f64 v[4:5], v[20:21], -v[4:5]
	v_fma_f64 v[20:21], v[20:21], 2.0, -v[4:5]
	s_waitcnt vmcnt(0)
	v_dual_mov_b32 v6, v72 :: v_dual_mov_b32 v7, v73
	v_dual_mov_b32 v2, v72 :: v_dual_mov_b32 v3, v73
	s_delay_alu instid0(VALU_DEP_2)
	v_fma_f64 v[22:23], v[22:23], 2.0, -v[6:7]
	ds_store_b128 v74, v[4:7] offset:16
	scratch_store_b128 off, v[0:3], off offset:4 ; 16-byte Folded Spill
	ds_store_b128 v74, v[20:23]
.LBB0_19:
	s_or_b32 exec_lo, exec_lo, s1
	v_and_b32_e32 v24, 3, v217
	s_waitcnt lgkmcnt(0)
	s_waitcnt_vscnt null, 0x0
	s_barrier
	buffer_gl0_inv
	v_add_nc_u32_e32 v228, v86, v88
	v_mul_u32_u24_e32 v0, 6, v24
	s_mov_b32 s16, 0x37e14327
	s_mov_b32 s18, 0xe976ee23
	;; [unrolled: 1-line block ×4, first 2 shown]
	v_lshlrev_b32_e32 v0, 4, v0
	s_mov_b32 s19, 0xbfe11646
	s_mov_b32 s3, 0x3febfeb5
	;; [unrolled: 1-line block ×4, first 2 shown]
	s_clause 0x5
	global_load_b128 v[94:97], v0, s[4:5] offset:16
	global_load_b128 v[20:23], v0, s[4:5]
	global_load_b128 v[70:73], v0, s[4:5] offset:80
	global_load_b128 v[82:85], v0, s[4:5] offset:64
	;; [unrolled: 1-line block ×4, first 2 shown]
	ds_load_2addr_b64 v[98:101], v191 offset0:48 offset1:104
	ds_load_2addr_b64 v[90:93], v192 offset0:144 offset1:200
	;; [unrolled: 1-line block ×3, first 2 shown]
	ds_load_b64 v[4:5], v228
	ds_load_2addr_b64 v[124:127], v191 offset0:160 offset1:216
	ds_load_2addr_b64 v[128:131], v190 offset0:16 offset1:72
	;; [unrolled: 1-line block ×8, first 2 shown]
	ds_load_2addr_b64 v[180:183], v114 offset1:56
	ds_load_2addr_b64 v[184:187], v179 offset0:112 offset1:168
	ds_load_2addr_b64 v[210:213], v192 offset0:32 offset1:88
	ds_load_b64 v[116:117], v1
	ds_load_b64 v[188:189], v233 offset:15232
	ds_load_b64 v[118:119], v233
	scratch_store_b32 off, v1, off offset:28 ; 4-byte Folded Spill
	s_mov_b32 s20, 0xb247c609
	s_mov_b32 s21, 0x3fd5d0dc
	;; [unrolled: 1-line block ×12, first 2 shown]
	ds_load_b64 v[114:115], v234
	v_cmp_gt_u32_e64 s0, 28, v217
	s_waitcnt vmcnt(5)
	v_mul_f64 v[148:149], v[62:63], v[96:97]
	v_mul_f64 v[150:151], v[64:65], v[96:97]
	s_waitcnt lgkmcnt(18)
	v_mul_f64 v[136:137], v[98:99], v[96:97]
	s_waitcnt lgkmcnt(14)
	v_mul_f64 v[160:161], v[126:127], v[96:97]
	s_waitcnt vmcnt(1)
	v_mul_f64 v[200:201], v[60:61], v[80:81]
	v_mul_f64 v[202:203], v[58:59], v[96:97]
	;; [unrolled: 1-line block ×10, first 2 shown]
	s_waitcnt lgkmcnt(13)
	v_mul_f64 v[198:199], v[130:131], v[80:81]
	s_waitcnt vmcnt(0) lgkmcnt(12)
	v_mul_f64 v[214:215], v[140:141], v[76:77]
	v_mul_f64 v[206:207], v[10:11], v[84:85]
	;; [unrolled: 1-line block ×5, first 2 shown]
	s_waitcnt lgkmcnt(11)
	v_mul_f64 v[241:242], v[132:133], v[22:23]
	v_mul_f64 v[243:244], v[134:135], v[22:23]
	;; [unrolled: 1-line block ×4, first 2 shown]
	s_waitcnt lgkmcnt(10)
	v_mul_f64 v[249:250], v[102:103], v[22:23]
	v_mul_f64 v[253:254], v[104:105], v[22:23]
	;; [unrolled: 1-line block ×5, first 2 shown]
	s_waitcnt lgkmcnt(9)
	v_mul_f64 v[229:230], v[144:145], v[80:81]
	s_waitcnt lgkmcnt(4)
	v_mul_f64 v[6:7], v[212:213], v[84:85]
	;; [unrolled: 2-line block ×3, first 2 shown]
	v_mul_f64 v[22:23], v[52:53], v[22:23]
	v_mul_f64 v[218:219], v[36:37], v[76:77]
	;; [unrolled: 1-line block ×6, first 2 shown]
	v_fma_f64 v[196:197], v[98:99], v[94:95], v[148:149]
	v_fma_f64 v[168:169], v[100:101], v[94:95], v[150:151]
	v_mul_f64 v[148:149], v[156:157], v[84:85]
	v_mul_f64 v[150:151], v[180:181], v[72:73]
	v_fma_f64 v[96:97], v[62:63], v[94:95], -v[136:137]
	v_mul_f64 v[136:137], v[154:155], v[84:85]
	v_fma_f64 v[62:63], v[68:69], v[94:95], -v[160:161]
	v_fma_f64 v[68:69], v[130:131], v[78:79], v[200:201]
	v_fma_f64 v[100:101], v[128:129], v[94:95], v[202:203]
	v_mul_f64 v[200:201], v[182:183], v[72:73]
	v_mul_f64 v[202:203], v[210:211], v[84:85]
	v_fma_f64 v[64:65], v[64:65], v[94:95], -v[138:139]
	v_mul_f64 v[226:227], v[42:43], v[84:85]
	v_fma_f64 v[66:67], v[66:67], v[94:95], -v[158:159]
	v_mul_f64 v[158:159], v[44:45], v[84:85]
	v_mul_f64 v[2:3], v[170:171], v[76:77]
	v_fma_f64 v[160:161], v[124:125], v[94:95], v[164:165]
	v_fma_f64 v[138:139], v[126:127], v[94:95], v[174:175]
	v_mul_f64 v[239:240], v[172:173], v[76:77]
	v_fma_f64 v[58:59], v[58:59], v[94:95], -v[204:205]
	v_fma_f64 v[124:125], v[60:61], v[78:79], -v[198:199]
	v_mul_f64 v[198:199], v[16:17], v[76:77]
	v_mul_f64 v[106:107], v[18:19], v[76:77]
	v_fma_f64 v[98:99], v[54:55], v[20:21], -v[241:242]
	v_fma_f64 v[60:61], v[56:57], v[20:21], -v[243:244]
	v_mul_f64 v[241:242], v[12:13], v[80:81]
	v_fma_f64 v[174:175], v[132:133], v[20:21], v[245:246]
	v_fma_f64 v[164:165], v[134:135], v[20:21], v[247:248]
	v_mul_f64 v[243:244], v[30:31], v[84:85]
	v_mul_f64 v[245:246], v[14:15], v[80:81]
	v_fma_f64 v[94:95], v[50:51], v[20:21], -v[249:250]
	v_fma_f64 v[56:57], v[52:53], v[20:21], -v[253:254]
	v_mul_f64 v[50:51], v[8:9], v[76:77]
	v_mul_f64 v[52:53], v[32:33], v[84:85]
	v_fma_f64 v[122:123], v[122:123], v[20:21], -v[152:153]
	v_fma_f64 v[126:127], v[46:47], v[70:71], -v[162:163]
	v_fma_f64 v[128:129], v[10:11], v[82:83], -v[166:167]
	v_mul_f64 v[10:11], v[184:185], v[80:81]
	v_mul_f64 v[46:47], v[186:187], v[80:81]
	v_fma_f64 v[204:205], v[4:5], v[20:21], v[194:195]
	v_mul_f64 v[4:5], v[86:87], v[76:77]
	v_fma_f64 v[206:207], v[88:89], v[82:83], v[206:207]
	v_fma_f64 v[130:131], v[140:141], v[74:75], v[208:209]
	;; [unrolled: 1-line block ×3, first 2 shown]
	v_fma_f64 v[88:89], v[44:45], v[82:83], -v[148:149]
	v_fma_f64 v[76:77], v[38:39], v[70:71], -v[150:151]
	;; [unrolled: 1-line block ×3, first 2 shown]
	v_mul_f64 v[54:55], v[38:39], v[72:73]
	v_mul_f64 v[247:248], v[40:41], v[72:73]
	v_fma_f64 v[84:85], v[48:49], v[70:71], -v[220:221]
	v_fma_f64 v[80:81], v[42:43], v[82:83], -v[136:137]
	v_mul_f64 v[38:39], v[120:121], v[72:73]
	v_fma_f64 v[162:163], v[102:103], v[20:21], v[251:252]
	v_fma_f64 v[132:133], v[36:37], v[74:75], -v[176:177]
	v_fma_f64 v[72:73], v[40:41], v[70:71], -v[200:201]
	;; [unrolled: 1-line block ×6, first 2 shown]
	v_fma_f64 v[150:151], v[142:143], v[74:75], v[218:219]
	v_fma_f64 v[200:201], v[92:93], v[70:71], v[222:223]
	v_fma_f64 v[92:93], v[28:29], v[78:79], -v[231:232]
	v_fma_f64 v[152:153], v[144:145], v[78:79], v[235:236]
	v_fma_f64 v[144:145], v[146:147], v[78:79], v[224:225]
	;; [unrolled: 1-line block ×4, first 2 shown]
	v_fma_f64 v[146:147], v[16:17], v[74:75], -v[2:3]
	v_fma_f64 v[154:155], v[170:171], v[74:75], v[198:199]
	v_fma_f64 v[142:143], v[172:173], v[74:75], v[106:107]
	;; [unrolled: 1-line block ×7, first 2 shown]
	v_fma_f64 v[86:87], v[18:19], v[74:75], -v[239:240]
	v_add_f64 v[0:1], v[122:123], v[126:127]
	v_fma_f64 v[156:157], v[12:13], v[78:79], -v[10:11]
	v_fma_f64 v[78:79], v[14:15], v[78:79], -v[46:47]
	;; [unrolled: 1-line block ×3, first 2 shown]
	v_add_f64 v[4:5], v[196:197], -v[206:207]
	v_add_f64 v[8:9], v[130:131], -v[68:69]
	;; [unrolled: 1-line block ×3, first 2 shown]
	v_add_f64 v[16:17], v[66:67], v[88:89]
	v_add_f64 v[14:15], v[60:61], v[76:77]
	;; [unrolled: 1-line block ×4, first 2 shown]
	v_fma_f64 v[198:199], v[180:181], v[70:71], v[54:55]
	v_add_f64 v[6:7], v[98:99], v[84:85]
	v_add_f64 v[10:11], v[64:65], v[80:81]
	v_fma_f64 v[170:171], v[182:183], v[70:71], v[247:248]
	v_fma_f64 v[70:71], v[188:189], v[70:71], v[38:39]
	;; [unrolled: 1-line block ×3, first 2 shown]
	v_add_f64 v[25:26], v[94:95], v[72:73]
	v_add_f64 v[27:28], v[62:63], v[90:91]
	;; [unrolled: 1-line block ×5, first 2 shown]
	v_lshrrev_b32_e32 v55, 2, v217
	v_add_f64 v[39:40], v[174:175], -v[200:201]
	v_lshl_add_u32 v246, v255, 3, 0
	v_add_f64 v[22:23], v[150:151], -v[152:153]
	v_add_f64 v[20:21], v[168:169], -v[202:203]
	v_add_f64 v[35:36], v[160:161], -v[194:195]
	v_add_f64 v[41:42], v[92:93], v[146:147]
	v_add_f64 v[37:38], v[154:155], -v[144:145]
	v_mul_u32_u24_e32 v55, 28, v55
	v_add_f64 v[45:46], v[142:143], -v[148:149]
	v_add_f64 v[43:44], v[138:139], -v[166:167]
	v_add_f64 v[47:48], v[100:101], -v[158:159]
	v_add_f64 v[49:50], v[82:83], -v[140:141]
	v_add_f64 v[104:105], v[156:157], v[86:87]
	v_add_f64 v[180:181], v[78:79], v[74:75]
	v_add_f64 v[182:183], v[8:9], -v[4:5]
	v_add_f64 v[184:185], v[4:5], -v[12:13]
	v_add_f64 v[4:5], v[8:9], v[4:5]
	v_add_f64 v[186:187], v[16:17], v[14:15]
	v_add_f64 v[188:189], v[0:1], -v[18:19]
	v_add_f64 v[210:211], v[18:19], -v[2:3]
	v_add_f64 v[51:52], v[2:3], v[0:1]
	v_add_f64 v[53:54], v[164:165], -v[198:199]
	v_add_f64 v[106:107], v[10:11], v[6:7]
	v_add_f64 v[176:177], v[162:163], -v[170:171]
	v_add_f64 v[8:9], v[12:13], -v[8:9]
	;; [unrolled: 1-line block ×4, first 2 shown]
	v_add_f64 v[212:213], v[27:28], v[25:26]
	v_add_f64 v[214:215], v[6:7], -v[29:30]
	v_add_f64 v[220:221], v[29:30], -v[10:11]
	v_add_f64 v[218:219], v[33:34], v[31:32]
	v_add_f64 v[6:7], v[10:11], -v[6:7]
	v_add_f64 v[235:236], v[27:28], -v[25:26]
	;; [unrolled: 1-line block ×4, first 2 shown]
	v_add_f64 v[2:3], v[22:23], v[20:21]
	v_add_f64 v[10:11], v[22:23], -v[20:21]
	v_add_f64 v[14:15], v[14:15], -v[41:42]
	;; [unrolled: 1-line block ×3, first 2 shown]
	v_add_f64 v[224:225], v[37:38], v[35:36]
	v_add_f64 v[20:21], v[20:21], -v[39:40]
	v_add_f64 v[229:230], v[45:46], v[43:44]
	v_add_f64 v[22:23], v[39:40], -v[22:23]
	;; [unrolled: 2-line block ×3, first 2 shown]
	v_add_f64 v[27:28], v[104:105], -v[27:28]
	v_add_f64 v[31:32], v[31:32], -v[180:181]
	;; [unrolled: 1-line block ×3, first 2 shown]
	v_mul_f64 v[182:183], v[182:183], s[18:19]
	v_add_f64 v[4:5], v[4:5], v[12:13]
	v_add_f64 v[41:42], v[41:42], v[186:187]
	v_mul_f64 v[186:187], v[184:185], s[2:3]
	v_mul_f64 v[188:189], v[188:189], s[16:17]
	v_add_f64 v[18:19], v[18:19], v[51:52]
	v_add_f64 v[51:52], v[37:38], -v[35:36]
	v_add_f64 v[35:36], v[35:36], -v[53:54]
	v_add_f64 v[29:30], v[29:30], v[106:107]
	v_add_f64 v[106:107], v[45:46], -v[43:44]
	v_add_f64 v[43:44], v[43:44], -v[176:177]
	;; [unrolled: 1-line block ×3, first 2 shown]
	v_add_f64 v[104:105], v[104:105], v[212:213]
	v_mul_f64 v[212:213], v[210:211], s[12:13]
	v_mul_f64 v[214:215], v[214:215], s[16:17]
	v_add_f64 v[180:181], v[180:181], v[218:219]
	v_mul_f64 v[218:219], v[220:221], s[12:13]
	v_add_f64 v[37:38], v[53:54], -v[37:38]
	v_add_f64 v[45:46], v[176:177], -v[45:46]
	v_add_f64 v[47:48], v[47:48], -v[222:223]
	v_add_f64 v[49:50], v[222:223], -v[49:50]
	v_add_f64 v[2:3], v[2:3], v[39:40]
	v_mul_f64 v[10:11], v[10:11], s[18:19]
	v_mul_f64 v[14:15], v[14:15], s[16:17]
	v_add_f64 v[39:40], v[224:225], v[53:54]
	v_mul_f64 v[224:225], v[16:17], s[12:13]
	v_add_f64 v[53:54], v[229:230], v[176:177]
	v_add_f64 v[176:177], v[231:232], v[222:223]
	v_mul_f64 v[25:26], v[25:26], s[16:17]
	v_mul_f64 v[31:32], v[31:32], s[16:17]
	v_fma_f64 v[184:185], v[184:185], s[2:3], -v[182:183]
	v_fma_f64 v[182:183], v[8:9], s[20:21], v[182:183]
	v_add_f64 v[239:240], v[108:109], v[41:42]
	v_fma_f64 v[8:9], v[8:9], s[22:23], -v[186:187]
	v_fma_f64 v[186:187], v[210:211], s[12:13], v[188:189]
	scratch_load_b64 v[210:211], off, off offset:72 ; 8-byte Folded Reload
	v_fma_f64 v[188:189], v[0:1], s[14:15], -v[188:189]
	v_add_f64 v[222:223], v[112:113], v[18:19]
	v_mul_f64 v[112:113], v[20:21], s[2:3]
	v_mul_f64 v[51:52], v[51:52], s[18:19]
	;; [unrolled: 1-line block ×5, first 2 shown]
	v_fma_f64 v[0:1], v[0:1], s[6:7], -v[212:213]
	v_fma_f64 v[212:213], v[220:221], s[12:13], v[214:215]
	v_mul_f64 v[12:13], v[12:13], s[18:19]
	v_fma_f64 v[218:219], v[6:7], s[6:7], -v[218:219]
	v_fma_f64 v[6:7], v[6:7], s[14:15], -v[214:215]
	scratch_load_b64 v[214:215], off, off offset:80 ; 8-byte Folded Reload
	v_mul_f64 v[220:221], v[47:48], s[2:3]
	v_add_f64 v[231:232], v[110:111], v[29:30]
	v_mul_f64 v[110:111], v[27:28], s[12:13]
	v_fma_f64 v[20:21], v[20:21], s[2:3], -v[10:11]
	v_fma_f64 v[10:11], v[22:23], s[20:21], v[10:11]
	v_fma_f64 v[16:17], v[16:17], s[12:13], v[14:15]
	v_fma_f64 v[14:15], v[226:227], s[14:15], -v[14:15]
	v_fma_f64 v[27:28], v[27:28], s[12:13], v[25:26]
	v_fma_f64 v[25:26], v[235:236], s[14:15], -v[25:26]
	v_fma_f64 v[184:185], v[4:5], s[24:25], v[184:185]
	v_fma_f64 v[182:183], v[4:5], s[24:25], v[182:183]
	;; [unrolled: 1-line block ×5, first 2 shown]
	v_fma_f64 v[22:23], v[22:23], s[22:23], -v[112:113]
	v_fma_f64 v[112:113], v[226:227], s[6:7], -v[224:225]
	v_fma_f64 v[224:225], v[37:38], s[20:21], v[51:52]
	v_fma_f64 v[35:36], v[35:36], s[2:3], -v[51:52]
	v_fma_f64 v[37:38], v[37:38], s[22:23], -v[229:230]
	scratch_load_b32 v230, off, off offset:60 ; 4-byte Folded Reload
	v_fma_f64 v[51:52], v[45:46], s[20:21], v[106:107]
	v_fma_f64 v[43:44], v[43:44], s[2:3], -v[106:107]
	v_fma_f64 v[45:46], v[45:46], s[22:23], -v[108:109]
	v_fma_f64 v[108:109], v[49:50], s[20:21], v[12:13]
	s_clause 0x1
	scratch_load_b32 v226, off, off offset:32
	scratch_load_b32 v229, off, off offset:36
	v_fma_f64 v[49:50], v[49:50], s[22:23], -v[220:221]
	scratch_load_b32 v220, off, off offset:20 ; 4-byte Folded Reload
	v_fma_f64 v[29:30], v[29:30], s[26:27], v[231:232]
	v_fma_f64 v[10:11], v[2:3], s[24:25], v[10:11]
	v_fma_f64 v[110:111], v[235:236], s[6:7], -v[110:111]
	v_fma_f64 v[12:13], v[47:48], s[2:3], -v[12:13]
	v_add_f64 v[14:15], v[14:15], v[41:42]
	v_add_f64 v[16:17], v[16:17], v[41:42]
	;; [unrolled: 1-line block ×5, first 2 shown]
	v_fma_f64 v[18:19], v[2:3], s[24:25], v[20:21]
	v_fma_f64 v[2:3], v[2:3], s[24:25], v[22:23]
	;; [unrolled: 1-line block ×4, first 2 shown]
	v_add_f64 v[112:113], v[112:113], v[41:42]
	v_fma_f64 v[37:38], v[39:40], s[24:25], v[37:38]
	v_fma_f64 v[39:40], v[53:54], s[24:25], v[51:52]
	;; [unrolled: 1-line block ×4, first 2 shown]
	s_clause 0x1
	scratch_load_b32 v54, off, off offset:40
	scratch_load_b32 v221, off, off offset:24
	v_fma_f64 v[51:52], v[176:177], s[24:25], v[108:109]
	v_add_f64 v[20:21], v[218:219], v[29:30]
	v_add_f64 v[6:7], v[6:7], v[29:30]
	;; [unrolled: 1-line block ×3, first 2 shown]
	v_fma_f64 v[12:13], v[176:177], s[24:25], v[12:13]
	v_fma_f64 v[49:50], v[176:177], s[24:25], v[49:50]
	v_lshl_add_u32 v218, v216, 3, 0
	v_add_f64 v[176:177], v[0:1], -v[184:185]
	s_waitcnt vmcnt(7)
	v_add_f64 v[241:242], v[210:211], v[104:105]
	v_mul_f64 v[210:211], v[33:34], s[12:13]
	v_fma_f64 v[33:34], v[33:34], s[12:13], v[31:32]
	v_fma_f64 v[31:32], v[237:238], s[14:15], -v[31:32]
	s_waitcnt vmcnt(6)
	v_add_f64 v[214:215], v[214:215], v[180:181]
	v_fma_f64 v[104:105], v[104:105], s[26:27], v[241:242]
	v_fma_f64 v[47:48], v[237:238], s[6:7], -v[210:211]
	v_mov_b32_e32 v238, v234
	s_waitcnt vmcnt(5)
	v_lshl_add_u32 v219, v230, 3, 0
	v_fma_f64 v[180:181], v[180:181], s[26:27], v[214:215]
	s_waitcnt vmcnt(3)
	v_lshrrev_b32_e32 v108, 2, v229
	ds_load_b64 v[106:107], v226
	s_waitcnt vmcnt(2)
	v_lshrrev_b32_e32 v188, 2, v220
	s_delay_alu instid0(VALU_DEP_1)
	v_mul_lo_u32 v188, v188, 28
	v_add_f64 v[43:44], v[110:111], v[104:105]
	v_add_f64 v[25:26], v[25:26], v[104:105]
	;; [unrolled: 1-line block ×4, first 2 shown]
	v_add_f64 v[4:5], v[186:187], -v[4:5]
	v_add_nc_u32_e32 v110, 0xc00, v233
	v_add_f64 v[47:48], v[47:48], v[180:181]
	v_add_f64 v[33:34], v[33:34], v[180:181]
	;; [unrolled: 1-line block ×3, first 2 shown]
	s_waitcnt vmcnt(0)
	v_lshrrev_b32_e32 v53, 2, v221
	v_lshrrev_b32_e32 v109, 2, v54
	v_add_f64 v[180:181], v[184:185], v[0:1]
	v_add_f64 v[184:185], v[37:38], v[14:15]
	v_add_f64 v[14:15], v[14:15], -v[37:38]
	v_mul_lo_u32 v189, v53, 28
	v_add_f64 v[53:54], v[182:183], v[8:9]
	v_add_f64 v[8:9], v[8:9], -v[182:183]
	v_add_f64 v[182:183], v[20:21], -v[18:19]
	v_add_f64 v[18:19], v[18:19], v[20:21]
	v_add_f64 v[20:21], v[2:3], v[6:7]
	v_add_f64 v[2:3], v[6:7], -v[2:3]
	v_add_f64 v[6:7], v[10:11], v[29:30]
	v_add_f64 v[10:11], v[29:30], -v[10:11]
	;; [unrolled: 2-line block ×4, first 2 shown]
	v_add_nc_u32_e32 v112, 0x3400, v233
	v_add_f64 v[22:23], v[43:44], -v[41:42]
	v_add_f64 v[41:42], v[41:42], v[43:44]
	v_add_f64 v[43:44], v[45:46], v[25:26]
	v_add_f64 v[25:26], v[25:26], -v[45:46]
	v_add_f64 v[45:46], v[39:40], v[27:28]
	v_add_f64 v[27:28], v[27:28], -v[39:40]
	v_add_f64 v[39:40], v[47:48], -v[12:13]
	v_add_f64 v[12:13], v[12:13], v[47:48]
	v_add_f64 v[47:48], v[51:52], v[33:34]
	v_add_f64 v[0:1], v[33:34], -v[51:52]
	v_mul_lo_u32 v33, v108, 28
	v_mul_lo_u32 v34, v109, 28
	v_add_f64 v[186:187], v[49:50], v[31:32]
	v_add_f64 v[31:32], v[31:32], -v[49:50]
	v_or_b32_e32 v49, v55, v24
	v_or_b32_e32 v50, v188, v24
	v_lshl_add_u32 v52, v229, 3, 0
	v_or_b32_e32 v51, v189, v24
	v_or_b32_e32 v33, v33, v24
	;; [unrolled: 1-line block ×3, first 2 shown]
	v_lshl_add_u32 v213, v49, 3, 0
	ds_load_b64 v[108:109], v52
	v_lshl_add_u32 v211, v50, 3, 0
	s_waitcnt lgkmcnt(0)
	s_waitcnt_vscnt null, 0x0
	s_barrier
	buffer_gl0_inv
	v_lshl_add_u32 v212, v51, 3, 0
	v_lshl_add_u32 v210, v33, 3, 0
	;; [unrolled: 1-line block ×3, first 2 shown]
	ds_store_2addr_b64 v213, v[222:223], v[53:54] offset1:4
	ds_store_2addr_b64 v213, v[104:105], v[176:177] offset0:8 offset1:12
	ds_store_2addr_b64 v213, v[180:181], v[4:5] offset0:16 offset1:20
	ds_store_b64 v213, v[8:9] offset:192
	ds_store_2addr_b64 v211, v[231:232], v[6:7] offset1:4
	ds_store_2addr_b64 v211, v[20:21], v[182:183] offset0:8 offset1:12
	ds_store_2addr_b64 v211, v[18:19], v[2:3] offset0:16 offset1:20
	ds_store_b64 v211, v[10:11] offset:192
	;; [unrolled: 4-line block ×4, first 2 shown]
	ds_store_2addr_b64 v113, v[214:215], v[47:48] offset1:4
	scratch_load_b32 v176, off, off offset:28 ; 4-byte Folded Reload
	ds_store_2addr_b64 v113, v[186:187], v[39:40] offset0:8 offset1:12
	ds_store_2addr_b64 v113, v[12:13], v[31:32] offset0:16 offset1:20
	ds_store_b64 v113, v[0:1] offset:192
	s_waitcnt vmcnt(0) lgkmcnt(0)
	s_barrier
	buffer_gl0_inv
	ds_load_b64 v[104:105], v233
	ds_load_2addr_b64 v[36:39], v179 offset0:84 offset1:140
	ds_load_2addr_b64 v[32:35], v178 offset0:68 offset1:124
	;; [unrolled: 1-line block ×4, first 2 shown]
	ds_load_b64 v[188:189], v52
	scratch_store_b32 off, v219, off offset:80 ; 4-byte Folded Spill
	v_dual_mov_b32 v214, v52 :: v_dual_add_nc_u32 v111, 0x1400, v233
	ds_load_b64 v[186:187], v234
	v_mov_b32_e32 v215, v218
	v_dual_mov_b32 v177, v226 :: v_dual_mov_b32 v234, v228
	ds_load_b64 v[182:183], v219
	ds_load_b64 v[180:181], v218
	;; [unrolled: 1-line block ×4, first 2 shown]
	ds_load_2addr_b64 v[28:31], v193 offset0:148 offset1:204
	ds_load_2addr_b64 v[16:19], v192 offset0:4 offset1:60
	ds_load_2addr_b64 v[48:51], v191 offset0:104 offset1:160
	ds_load_2addr_b64 v[8:11], v192 offset0:116 offset1:172
	ds_load_2addr_b64 v[40:43], v190 offset0:72 offset1:128
	ds_load_b64 v[190:191], v226
	ds_load_b64 v[192:193], v176
	ds_load_b64 v[4:5], v233 offset:15008
	ds_load_2addr_b64 v[52:55], v110 offset0:120 offset1:176
	ds_load_2addr_b64 v[44:47], v111 offset0:88 offset1:144
	;; [unrolled: 1-line block ×3, first 2 shown]
	s_and_saveexec_b32 s1, s0
	s_cbranch_execz .LBB0_21
; %bb.20:
	ds_load_b64 v[0:1], v233 offset:7616
	ds_load_b64 v[2:3], v233 offset:15456
	s_waitcnt lgkmcnt(0)
	scratch_store_b128 off, v[0:3], off offset:44 ; 16-byte Folded Spill
.LBB0_21:
	s_or_b32 exec_lo, exec_lo, s1
	v_add_f64 v[2:3], v[204:205], v[208:209]
	v_add_f64 v[6:7], v[196:197], v[206:207]
	;; [unrolled: 1-line block ×11, first 2 shown]
	v_add_f64 v[96:97], v[96:97], -v[128:129]
	v_add_f64 v[124:125], v[134:135], -v[124:125]
	v_add_f64 v[122:123], v[122:123], -v[126:127]
	v_add_f64 v[126:127], v[152:153], v[150:151]
	v_add_f64 v[64:65], v[64:65], -v[80:81]
	v_add_f64 v[80:81], v[132:133], -v[136:137]
	v_add_f64 v[84:85], v[98:99], -v[84:85]
	v_add_f64 v[98:99], v[144:145], v[154:155]
	;; [unrolled: 4-line block ×3, first 2 shown]
	v_add_f64 v[62:63], v[62:63], -v[90:91]
	v_add_f64 v[86:87], v[86:87], -v[156:157]
	;; [unrolled: 1-line block ×4, first 2 shown]
	v_add_f64 v[82:83], v[140:141], v[82:83]
	v_add_f64 v[74:75], v[74:75], -v[78:79]
	v_add_f64 v[56:57], v[56:57], -v[102:103]
	s_waitcnt lgkmcnt(0)
	s_waitcnt_vscnt null, 0x0
	s_barrier
	buffer_gl0_inv
	v_add_f64 v[128:129], v[6:7], v[2:3]
	v_add_f64 v[130:131], v[168:169], v[174:175]
	v_add_f64 v[158:159], v[168:169], -v[174:175]
	v_add_f64 v[76:77], v[160:161], v[164:165]
	v_add_f64 v[90:91], v[138:139], v[162:163]
	;; [unrolled: 1-line block ×3, first 2 shown]
	v_add_f64 v[94:95], v[2:3], -v[68:69]
	v_add_f64 v[102:103], v[68:69], -v[6:7]
	;; [unrolled: 1-line block ×12, first 2 shown]
	v_add_f64 v[66:67], v[88:89], v[66:67]
	v_add_f64 v[150:151], v[86:87], -v[62:63]
	v_add_f64 v[6:7], v[62:63], -v[72:73]
	v_add_f64 v[62:63], v[86:87], v[62:63]
	v_add_f64 v[88:89], v[60:61], -v[88:89]
	v_add_f64 v[152:153], v[74:75], -v[58:59]
	v_add_f64 v[154:155], v[58:59], -v[56:57]
	v_add_f64 v[58:59], v[74:75], v[58:59]
	v_add_f64 v[138:139], v[138:139], -v[162:163]
	;; [unrolled: 4-line block ×3, first 2 shown]
	v_add_f64 v[126:127], v[126:127], v[130:131]
	v_add_f64 v[130:131], v[98:99], -v[160:161]
	v_add_f64 v[76:77], v[98:99], v[76:77]
	v_add_f64 v[98:99], v[162:163], -v[92:93]
	v_add_f64 v[90:91], v[92:93], v[90:91]
	v_add_f64 v[92:93], v[124:125], v[96:97]
	v_add_f64 v[96:97], v[70:71], -v[82:83]
	v_add_f64 v[78:79], v[82:83], v[78:79]
	v_add_f64 v[64:65], v[80:81], v[64:65]
	v_add_f64 v[82:83], v[82:83], -v[100:101]
	v_add_f64 v[124:125], v[122:123], -v[124:125]
	v_mul_f64 v[94:95], v[94:95], s[16:17]
	v_mul_f64 v[120:121], v[120:121], s[18:19]
	;; [unrolled: 1-line block ×4, first 2 shown]
	v_add_f64 v[80:81], v[84:85], -v[80:81]
	v_mul_f64 v[134:135], v[134:135], s[16:17]
	v_add_f64 v[160:161], v[160:161], -v[164:165]
	v_mul_f64 v[164:165], v[140:141], s[2:3]
	v_mul_f64 v[168:169], v[136:137], s[12:13]
	;; [unrolled: 1-line block ×6, first 2 shown]
	v_add_f64 v[70:71], v[100:101], -v[70:71]
	v_mul_f64 v[100:101], v[6:7], s[2:3]
	v_mul_f64 v[172:173], v[148:149], s[12:13]
	v_mul_f64 v[152:153], v[152:153], s[18:19]
	v_add_f64 v[62:63], v[62:63], v[72:73]
	v_add_f64 v[56:57], v[58:59], v[56:57]
	;; [unrolled: 1-line block ×4, first 2 shown]
	v_mul_f64 v[128:129], v[128:129], s[18:19]
	v_add_f64 v[116:117], v[116:117], v[126:127]
	v_mul_f64 v[170:171], v[130:131], s[12:13]
	v_add_f64 v[106:107], v[106:107], v[76:77]
	;; [unrolled: 2-line block ×3, first 2 shown]
	v_add_f64 v[92:93], v[92:93], v[122:123]
	v_mul_f64 v[96:97], v[96:97], s[16:17]
	v_mul_f64 v[122:123], v[154:155], s[2:3]
	v_add_f64 v[114:115], v[114:115], v[78:79]
	v_add_f64 v[64:65], v[64:65], v[84:85]
	v_mul_f64 v[84:85], v[82:83], s[12:13]
	v_fma_f64 v[58:59], v[102:103], s[12:13], v[94:95]
	v_fma_f64 v[72:73], v[124:125], s[20:21], v[120:121]
	v_fma_f64 v[66:67], v[2:3], s[6:7], -v[156:157]
	v_fma_f64 v[2:3], v[2:3], s[14:15], -v[94:95]
	;; [unrolled: 1-line block ×4, first 2 shown]
	v_fma_f64 v[120:121], v[136:137], s[12:13], v[134:135]
	v_fma_f64 v[132:133], v[158:159], s[14:15], -v[134:135]
	v_fma_f64 v[124:125], v[158:159], s[6:7], -v[168:169]
	v_fma_f64 v[130:131], v[130:131], s[12:13], v[142:143]
	v_fma_f64 v[156:157], v[86:87], s[20:21], v[150:151]
	v_fma_f64 v[6:7], v[6:7], s[2:3], -v[150:151]
	v_fma_f64 v[86:87], v[86:87], s[22:23], -v[100:101]
	v_fma_f64 v[100:101], v[74:75], s[20:21], v[152:153]
	v_fma_f64 v[68:69], v[68:69], s[26:27], v[118:119]
	;; [unrolled: 1-line block ×3, first 2 shown]
	v_fma_f64 v[128:129], v[140:141], s[2:3], -v[128:129]
	v_fma_f64 v[80:81], v[80:81], s[22:23], -v[164:165]
	v_fma_f64 v[126:127], v[126:127], s[26:27], v[116:117]
	v_fma_f64 v[140:141], v[160:161], s[14:15], -v[142:143]
	v_fma_f64 v[142:143], v[88:89], s[20:21], v[144:145]
	v_fma_f64 v[144:145], v[146:147], s[2:3], -v[144:145]
	v_fma_f64 v[88:89], v[88:89], s[22:23], -v[162:163]
	v_fma_f64 v[76:77], v[76:77], s[26:27], v[106:107]
	v_fma_f64 v[136:137], v[160:161], s[6:7], -v[170:171]
	v_fma_f64 v[146:147], v[148:149], s[12:13], v[98:99]
	v_fma_f64 v[90:91], v[90:91], s[26:27], v[108:109]
	v_fma_f64 v[148:149], v[138:139], s[6:7], -v[172:173]
	v_fma_f64 v[98:99], v[138:139], s[14:15], -v[98:99]
	v_fma_f64 v[82:83], v[82:83], s[12:13], v[96:97]
	v_fma_f64 v[138:139], v[154:155], s[2:3], -v[152:153]
	v_fma_f64 v[74:75], v[74:75], s[22:23], -v[122:123]
	;; [unrolled: 3-line block ×3, first 2 shown]
	v_fma_f64 v[72:73], v[92:93], s[24:25], v[72:73]
	v_fma_f64 v[84:85], v[92:93], s[24:25], v[94:95]
	;; [unrolled: 1-line block ×5, first 2 shown]
	v_add_f64 v[58:59], v[58:59], v[68:69]
	v_add_f64 v[2:3], v[2:3], v[68:69]
	;; [unrolled: 1-line block ×3, first 2 shown]
	v_fma_f64 v[68:69], v[64:65], s[24:25], v[134:135]
	v_fma_f64 v[94:95], v[64:65], s[24:25], v[128:129]
	;; [unrolled: 1-line block ×3, first 2 shown]
	v_add_f64 v[80:81], v[120:121], v[126:127]
	v_add_f64 v[102:103], v[132:133], v[126:127]
	;; [unrolled: 1-line block ×3, first 2 shown]
	v_fma_f64 v[122:123], v[60:61], s[24:25], v[142:143]
	v_fma_f64 v[124:125], v[60:61], s[24:25], v[144:145]
	;; [unrolled: 1-line block ×3, first 2 shown]
	v_add_f64 v[88:89], v[130:131], v[76:77]
	v_add_f64 v[126:127], v[140:141], v[76:77]
	;; [unrolled: 1-line block ×3, first 2 shown]
	v_fma_f64 v[128:129], v[62:63], s[24:25], v[156:157]
	v_fma_f64 v[62:63], v[62:63], s[24:25], v[86:87]
	v_add_f64 v[86:87], v[146:147], v[90:91]
	v_add_f64 v[98:99], v[98:99], v[90:91]
	v_add_f64 v[90:91], v[148:149], v[90:91]
	v_fma_f64 v[130:131], v[56:57], s[24:25], v[138:139]
	v_fma_f64 v[56:57], v[56:57], s[24:25], v[74:75]
	v_add_f64 v[74:75], v[82:83], v[78:79]
	v_add_f64 v[82:83], v[96:97], v[78:79]
	;; [unrolled: 1-line block ×3, first 2 shown]
	v_add_f64 v[78:79], v[58:59], -v[72:73]
	v_add_f64 v[96:97], v[2:3], -v[92:93]
	v_add_f64 v[132:133], v[84:85], v[66:67]
	v_add_f64 v[66:67], v[66:67], -v[84:85]
	v_add_f64 v[2:3], v[92:93], v[2:3]
	v_add_f64 v[58:59], v[72:73], v[58:59]
	v_add_f64 v[72:73], v[80:81], -v[68:69]
	v_add_f64 v[84:85], v[102:103], -v[64:65]
	v_add_f64 v[92:93], v[94:95], v[120:121]
	v_add_f64 v[94:95], v[120:121], -v[94:95]
	v_add_f64 v[64:65], v[64:65], v[102:103]
	v_add_f64 v[68:69], v[68:69], v[80:81]
	;; [unrolled: 6-line block ×5, first 2 shown]
	v_add_nc_u32_e32 v74, 0x1c00, v233
	v_add_nc_u32_e32 v75, 0x2000, v233
	;; [unrolled: 1-line block ×6, first 2 shown]
	ds_store_2addr_b64 v213, v[118:119], v[78:79] offset1:4
	ds_store_2addr_b64 v213, v[96:97], v[132:133] offset0:8 offset1:12
	ds_store_2addr_b64 v213, v[66:67], v[2:3] offset0:16 offset1:20
	ds_store_b64 v213, v[58:59] offset:192
	ds_store_2addr_b64 v211, v[116:117], v[72:73] offset1:4
	ds_store_2addr_b64 v211, v[84:85], v[92:93] offset0:8 offset1:12
	ds_store_2addr_b64 v211, v[94:95], v[64:65] offset0:16 offset1:20
	ds_store_b64 v211, v[68:69] offset:192
	;; [unrolled: 4-line block ×5, first 2 shown]
	v_lshl_add_u32 v2, v230, 3, 0
	s_waitcnt lgkmcnt(0)
	s_barrier
	buffer_gl0_inv
	ds_load_b64 v[196:197], v233
	ds_load_2addr_b64 v[80:83], v74 offset0:84 offset1:140
	ds_load_b64 v[198:199], v177
	ds_load_2addr_b64 v[84:87], v75 offset0:68 offset1:124
	ds_load_2addr_b64 v[76:79], v75 offset0:180 offset1:236
	;; [unrolled: 1-line block ×3, first 2 shown]
	ds_load_b64 v[204:205], v214
	ds_load_b64 v[206:207], v238
	scratch_store_b32 off, v215, off offset:72 ; 4-byte Folded Spill
	ds_load_b64 v[200:201], v2
	ds_load_b64 v[202:203], v215
	;; [unrolled: 1-line block ×4, first 2 shown]
	ds_load_2addr_b64 v[88:91], v100 offset0:148 offset1:204
	ds_load_2addr_b64 v[56:59], v110 offset0:120 offset1:176
	;; [unrolled: 1-line block ×8, first 2 shown]
	ds_load_b64 v[212:213], v176
	ds_load_b64 v[214:215], v233 offset:15008
	s_and_saveexec_b32 s1, s0
	s_cbranch_execz .LBB0_23
; %bb.22:
	ds_load_b64 v[194:195], v233 offset:7616
	ds_load_b64 v[2:3], v233 offset:15456
	s_waitcnt lgkmcnt(0)
	scratch_store_b128 off, v[0:3], off offset:4 ; 16-byte Folded Spill
.LBB0_23:
	s_or_b32 exec_lo, exec_lo, s1
	s_clause 0x1
	scratch_load_b32 v228, off, off offset:40
	scratch_load_b32 v121, off, off
	v_subrev_nc_u32_e32 v2, 28, v217
	v_mov_b32_e32 v3, 0
	v_lshrrev_b16 v110, 2, v230
	v_add_nc_u32_e32 v126, 0x1f8, v217
	v_add_nc_u32_e32 v124, 0x230, v217
	v_cndmask_b32_e64 v2, v2, v217, s0
	v_add_nc_u32_e32 v122, 0x2a0, v217
	v_and_b32_e32 v110, 0xffff, v110
	v_add_nc_u32_e32 v127, 0x348, v217
	v_or_b32_e32 v125, 0x380, v217
	v_lshlrev_b64 v[6:7], 4, v[2:3]
	v_lshrrev_b16 v3, 2, v216
	v_lshlrev_b32_e32 v2, 3, v2
	v_add_nc_u32_e32 v123, 0x3b8, v217
	v_add_nc_u32_e32 v128, 0x310, v217
	s_delay_alu instid0(VALU_DEP_4) | instskip(SKIP_1) | instid1(VALU_DEP_1)
	v_and_b32_e32 v3, 0xffff, v3
	v_add_co_u32 v106, s1, s4, v6
	v_add_co_ci_u32_e64 v107, s1, s5, v7, s1
	s_delay_alu instid0(VALU_DEP_3) | instskip(SKIP_1) | instid1(VALU_DEP_2)
	v_mul_u32_u24_e32 v3, 0x4925, v3
	v_cmp_lt_u32_e64 s1, 27, v217
	v_lshrrev_b32_e32 v248, 17, v3
	s_delay_alu instid0(VALU_DEP_1) | instskip(NEXT) | instid1(VALU_DEP_1)
	v_mul_lo_u16 v3, v248, 28
	v_sub_nc_u16 v116, v216, v3
	v_lshrrev_b16 v3, 2, v255
	s_delay_alu instid0(VALU_DEP_2) | instskip(NEXT) | instid1(VALU_DEP_2)
	v_and_b32_e32 v236, 0xffff, v116
	v_and_b32_e32 v3, 0xffff, v3
	s_delay_alu instid0(VALU_DEP_2) | instskip(NEXT) | instid1(VALU_DEP_2)
	v_lshlrev_b32_e32 v136, 4, v236
	v_mul_u32_u24_e32 v3, 0x4925, v3
	s_delay_alu instid0(VALU_DEP_1) | instskip(NEXT) | instid1(VALU_DEP_1)
	v_lshrrev_b32_e32 v249, 17, v3
	v_mul_lo_u16 v3, v249, 28
	s_delay_alu instid0(VALU_DEP_1) | instskip(SKIP_1) | instid1(VALU_DEP_2)
	v_sub_nc_u16 v6, v255, v3
	v_add_nc_u16 v3, v217, 0x268
	v_and_b32_e32 v239, 0xffff, v6
	s_delay_alu instid0(VALU_DEP_2) | instskip(NEXT) | instid1(VALU_DEP_2)
	v_lshrrev_b16 v7, 2, v3
	v_lshlrev_b32_e32 v140, 4, v239
	s_delay_alu instid0(VALU_DEP_2) | instskip(NEXT) | instid1(VALU_DEP_1)
	v_and_b32_e32 v7, 0xffff, v7
	v_mul_u32_u24_e32 v7, 0x4925, v7
	s_delay_alu instid0(VALU_DEP_1) | instskip(NEXT) | instid1(VALU_DEP_1)
	v_lshrrev_b32_e32 v247, 17, v7
	v_mul_lo_u16 v7, v247, 28
	s_delay_alu instid0(VALU_DEP_1) | instskip(SKIP_1) | instid1(VALU_DEP_2)
	v_sub_nc_u16 v7, v3, v7
	v_add_nc_u16 v3, v217, 0x2d8
	v_and_b32_e32 v242, 0xffff, v7
	s_delay_alu instid0(VALU_DEP_2) | instskip(NEXT) | instid1(VALU_DEP_2)
	v_lshrrev_b16 v108, 2, v3
	v_lshlrev_b32_e32 v152, 4, v242
	s_delay_alu instid0(VALU_DEP_2) | instskip(NEXT) | instid1(VALU_DEP_1)
	v_and_b32_e32 v108, 0xffff, v108
	v_mul_u32_u24_e32 v108, 0x4925, v108
	s_delay_alu instid0(VALU_DEP_1) | instskip(NEXT) | instid1(VALU_DEP_1)
	v_lshrrev_b32_e32 v251, 17, v108
	v_mul_lo_u16 v108, v251, 28
	s_delay_alu instid0(VALU_DEP_1) | instskip(SKIP_1) | instid1(VALU_DEP_2)
	v_sub_nc_u16 v117, v3, v108
	v_cndmask_b32_e64 v3, 0, 0x1c0, s1
	v_and_b32_e32 v244, 0xffff, v117
	s_delay_alu instid0(VALU_DEP_2) | instskip(SKIP_2) | instid1(VALU_DEP_4)
	v_add3_u32 v250, 0, v3, v2
	v_lshrrev_b16 v2, 2, v220
	v_lshrrev_b16 v3, 2, v229
	v_lshlrev_b32_e32 v160, 4, v244
	s_delay_alu instid0(VALU_DEP_3) | instskip(NEXT) | instid1(VALU_DEP_3)
	v_and_b32_e32 v2, 63, v2
	v_and_b32_e32 v3, 63, v3
	s_delay_alu instid0(VALU_DEP_2) | instskip(NEXT) | instid1(VALU_DEP_2)
	v_mul_lo_u16 v2, v2, 37
	v_mul_lo_u16 v3, v3, 37
	s_delay_alu instid0(VALU_DEP_2) | instskip(SKIP_1) | instid1(VALU_DEP_3)
	v_lshrrev_b16 v176, 8, v2
	v_lshrrev_b16 v2, 2, v221
	;; [unrolled: 1-line block ×4, first 2 shown]
	s_delay_alu instid0(VALU_DEP_4) | instskip(NEXT) | instid1(VALU_DEP_4)
	v_mul_lo_u16 v111, v176, 28
	v_and_b32_e32 v2, 63, v2
	s_delay_alu instid0(VALU_DEP_3) | instskip(NEXT) | instid1(VALU_DEP_3)
	v_and_b32_e32 v3, 0xffff, v3
	v_sub_nc_u16 v111, v220, v111
	s_delay_alu instid0(VALU_DEP_3) | instskip(NEXT) | instid1(VALU_DEP_2)
	v_mul_lo_u16 v2, v2, 37
	v_and_b32_e32 v224, 0xff, v111
	s_delay_alu instid0(VALU_DEP_2) | instskip(SKIP_2) | instid1(VALU_DEP_2)
	v_lshrrev_b16 v177, 8, v2
	v_mul_u32_u24_e32 v2, 0x4925, v110
	v_lshrrev_b16 v110, 2, v124
	v_lshrrev_b32_e32 v220, 17, v2
	v_mul_u32_u24_e32 v2, 0x4925, v3
	s_delay_alu instid0(VALU_DEP_3) | instskip(NEXT) | instid1(VALU_DEP_1)
	v_and_b32_e32 v110, 0xffff, v110
	v_mul_u32_u24_e32 v3, 0x4925, v110
	v_lshrrev_b16 v110, 2, v123
	s_delay_alu instid0(VALU_DEP_2) | instskip(NEXT) | instid1(VALU_DEP_2)
	v_lshrrev_b32_e32 v222, 17, v3
	v_and_b32_e32 v110, 0xffff, v110
	v_lshrrev_b16 v3, 2, v128
	s_delay_alu instid0(VALU_DEP_2) | instskip(NEXT) | instid1(VALU_DEP_2)
	v_mul_u32_u24_e32 v110, 0x4925, v110
	v_and_b32_e32 v3, 0xffff, v3
	s_delay_alu instid0(VALU_DEP_2) | instskip(NEXT) | instid1(VALU_DEP_2)
	v_lshrrev_b32_e32 v119, 17, v110
	v_mul_u32_u24_e32 v3, 0x4925, v3
	s_delay_alu instid0(VALU_DEP_2) | instskip(NEXT) | instid1(VALU_DEP_2)
	v_mul_lo_u16 v119, v119, 28
	v_lshrrev_b32_e32 v225, 17, v3
	s_delay_alu instid0(VALU_DEP_2) | instskip(NEXT) | instid1(VALU_DEP_2)
	v_sub_nc_u16 v119, v123, v119
	v_mul_lo_u16 v116, v225, 28
	s_delay_alu instid0(VALU_DEP_2) | instskip(NEXT) | instid1(VALU_DEP_2)
	v_and_b32_e32 v237, 0xffff, v119
	v_sub_nc_u16 v116, v128, v116
	s_delay_alu instid0(VALU_DEP_2) | instskip(NEXT) | instid1(VALU_DEP_2)
	v_lshlrev_b32_e32 v252, 4, v237
	v_and_b32_e32 v245, 0xffff, v116
	s_delay_alu instid0(VALU_DEP_1) | instskip(SKIP_4) | instid1(VALU_DEP_2)
	v_lshlrev_b32_e32 v164, 4, v245
	s_waitcnt vmcnt(1)
	v_lshrrev_b16 v108, 2, v228
	s_waitcnt vmcnt(0)
	v_lshrrev_b16 v109, 2, v121
	v_and_b32_e32 v108, 0xffff, v108
	s_delay_alu instid0(VALU_DEP_2) | instskip(NEXT) | instid1(VALU_DEP_2)
	v_and_b32_e32 v109, 0xffff, v109
	v_mul_u32_u24_e32 v108, 0x4925, v108
	s_delay_alu instid0(VALU_DEP_2) | instskip(NEXT) | instid1(VALU_DEP_2)
	v_mul_u32_u24_e32 v109, 0x4925, v109
	v_lshrrev_b32_e32 v218, 17, v108
	v_mul_lo_u16 v108, v177, 28
	s_delay_alu instid0(VALU_DEP_3) | instskip(SKIP_1) | instid1(VALU_DEP_3)
	v_lshrrev_b32_e32 v219, 17, v109
	v_lshrrev_b16 v109, 2, v125
	v_sub_nc_u16 v118, v221, v108
	v_lshrrev_b32_e32 v221, 17, v2
	v_lshrrev_b16 v2, 2, v122
	v_lshrrev_b16 v108, 2, v127
	v_and_b32_e32 v109, 0xffff, v109
	v_mul_lo_u16 v120, v219, 28
	s_delay_alu instid0(VALU_DEP_4) | instskip(NEXT) | instid1(VALU_DEP_4)
	v_and_b32_e32 v2, 0xffff, v2
	v_and_b32_e32 v108, 0xffff, v108
	s_delay_alu instid0(VALU_DEP_4) | instskip(NEXT) | instid1(VALU_DEP_4)
	v_mul_u32_u24_e32 v109, 0x4925, v109
	v_sub_nc_u16 v120, v121, v120
	v_mul_lo_u16 v121, v220, 28
	v_mul_u32_u24_e32 v2, 0x4925, v2
	v_mul_u32_u24_e32 v108, 0x4925, v108
	v_lshrrev_b32_e32 v227, 17, v109
	v_and_b32_e32 v232, 0xffff, v120
	v_sub_nc_u16 v121, v230, v121
	v_lshrrev_b32_e32 v223, 17, v2
	v_lshlrev_b32_e32 v2, 4, v224
	v_lshrrev_b32_e32 v226, 17, v108
	s_clause 0x1
	global_load_b128 v[108:111], v[106:107], off offset:384
	global_load_b128 v[112:115], v2, s[4:5] offset:384
	v_mul_lo_u16 v106, v216, 28
	v_mul_lo_u16 v107, v218, 28
	v_mul_lo_u16 v6, v223, 28
	v_mul_lo_u16 v120, v227, 28
	v_and_b32_e32 v235, 0xffff, v121
	v_sub_nc_u16 v106, v229, v106
	v_sub_nc_u16 v107, v228, v107
	v_and_b32_e32 v229, 0xff, v118
	v_mul_lo_u16 v118, v226, 28
	v_sub_nc_u16 v6, v122, v6
	v_and_b32_e32 v230, 0xff, v106
	v_and_b32_e32 v231, 0xffff, v107
	v_mul_lo_u16 v106, v221, 28
	v_mul_lo_u16 v107, v222, 28
	v_sub_nc_u16 v118, v127, v118
	v_sub_nc_u16 v120, v125, v120
	v_and_b32_e32 v243, 0xffff, v6
	v_sub_nc_u16 v106, v126, v106
	v_sub_nc_u16 v107, v124, v107
	v_and_b32_e32 v253, 0xffff, v118
	v_and_b32_e32 v254, 0xffff, v120
	v_lshlrev_b32_e32 v132, 4, v235
	v_and_b32_e32 v240, 0xffff, v106
	v_and_b32_e32 v241, 0xffff, v107
	v_lshlrev_b32_e32 v106, 4, v231
	v_lshlrev_b32_e32 v107, 4, v232
	;; [unrolled: 1-line block ×7, first 2 shown]
	s_waitcnt vmcnt(1) lgkmcnt(20)
	v_mul_f64 v[2:3], v[80:81], v[110:111]
	s_delay_alu instid0(VALU_DEP_1) | instskip(NEXT) | instid1(VALU_DEP_1)
	v_fma_f64 v[2:3], v[36:37], v[108:109], -v[2:3]
	v_add_f64 v[2:3], v[104:105], -v[2:3]
	s_delay_alu instid0(VALU_DEP_1)
	v_fma_f64 v[6:7], v[104:105], 2.0, -v[2:3]
	v_lshlrev_b32_e32 v104, 4, v229
	v_lshlrev_b32_e32 v105, 4, v230
	s_clause 0xf
	global_load_b128 v[116:119], v104, s[4:5] offset:384
	global_load_b128 v[120:123], v105, s[4:5] offset:384
	;; [unrolled: 1-line block ×16, first 2 shown]
	s_waitcnt vmcnt(0) lgkmcnt(0)
	s_waitcnt_vscnt null, 0x0
	s_barrier
	buffer_gl0_inv
	ds_store_2addr_b64 v250, v[6:7], v[2:3] offset1:28
	v_and_b32_e32 v2, 0xffff, v176
	v_lshlrev_b32_e32 v3, 3, v224
	s_delay_alu instid0(VALU_DEP_2) | instskip(NEXT) | instid1(VALU_DEP_1)
	v_mul_u32_u24_e32 v2, 0x1c0, v2
	v_add3_u32 v252, 0, v2, v3
	v_mul_f64 v[2:3], v[82:83], v[114:115]
	s_delay_alu instid0(VALU_DEP_1) | instskip(NEXT) | instid1(VALU_DEP_1)
	v_fma_f64 v[2:3], v[38:39], v[112:113], -v[2:3]
	v_add_f64 v[2:3], v[192:193], -v[2:3]
	s_delay_alu instid0(VALU_DEP_1) | instskip(SKIP_3) | instid1(VALU_DEP_2)
	v_fma_f64 v[6:7], v[192:193], 2.0, -v[2:3]
	ds_store_2addr_b64 v252, v[6:7], v[2:3] offset1:28
	v_and_b32_e32 v2, 0xffff, v177
	v_lshlrev_b32_e32 v3, 3, v229
	v_mul_u32_u24_e32 v2, 0x1c0, v2
	s_delay_alu instid0(VALU_DEP_1) | instskip(SKIP_1) | instid1(VALU_DEP_1)
	v_add3_u32 v192, 0, v2, v3
	v_mul_f64 v[2:3], v[84:85], v[118:119]
	v_fma_f64 v[2:3], v[32:33], v[116:117], -v[2:3]
	s_delay_alu instid0(VALU_DEP_1) | instskip(NEXT) | instid1(VALU_DEP_1)
	v_add_f64 v[2:3], v[190:191], -v[2:3]
	v_fma_f64 v[6:7], v[190:191], 2.0, -v[2:3]
	ds_store_2addr_b64 v192, v[6:7], v[2:3] offset1:28
	v_and_b32_e32 v2, 0xffff, v216
	v_lshlrev_b32_e32 v3, 3, v230
	s_delay_alu instid0(VALU_DEP_2) | instskip(NEXT) | instid1(VALU_DEP_1)
	v_mul_u32_u24_e32 v2, 0x1c0, v2
	v_add3_u32 v190, 0, v2, v3
	v_mul_f64 v[2:3], v[86:87], v[122:123]
	s_delay_alu instid0(VALU_DEP_1) | instskip(NEXT) | instid1(VALU_DEP_1)
	v_fma_f64 v[2:3], v[34:35], v[120:121], -v[2:3]
	v_add_f64 v[2:3], v[188:189], -v[2:3]
	s_delay_alu instid0(VALU_DEP_1) | instskip(SKIP_3) | instid1(VALU_DEP_1)
	v_fma_f64 v[6:7], v[188:189], 2.0, -v[2:3]
	ds_store_2addr_b64 v190, v[6:7], v[2:3] offset1:28
	v_mul_u32_u24_e32 v2, 0x1c0, v218
	v_lshlrev_b32_e32 v3, 3, v231
	v_add3_u32 v189, 0, v2, v3
	v_mul_f64 v[2:3], v[76:77], v[126:127]
	s_delay_alu instid0(VALU_DEP_1) | instskip(NEXT) | instid1(VALU_DEP_1)
	v_fma_f64 v[2:3], v[24:25], v[124:125], -v[2:3]
	v_add_f64 v[2:3], v[186:187], -v[2:3]
	s_delay_alu instid0(VALU_DEP_1) | instskip(SKIP_3) | instid1(VALU_DEP_1)
	v_fma_f64 v[6:7], v[186:187], 2.0, -v[2:3]
	ds_store_2addr_b64 v189, v[6:7], v[2:3] offset1:28
	v_mul_u32_u24_e32 v2, 0x1c0, v219
	v_lshlrev_b32_e32 v3, 3, v232
	;; [unrolled: 10-line block ×6, first 2 shown]
	v_add3_u32 v178, 0, v2, v3
	v_mul_f64 v[2:3], v[90:91], v[146:147]
	s_delay_alu instid0(VALU_DEP_1) | instskip(NEXT) | instid1(VALU_DEP_1)
	v_fma_f64 v[2:3], v[30:31], v[144:145], -v[2:3]
	v_add_f64 v[2:3], v[52:53], -v[2:3]
	s_delay_alu instid0(VALU_DEP_1) | instskip(SKIP_2) | instid1(VALU_DEP_1)
	v_fma_f64 v[6:7], v[52:53], 2.0, -v[2:3]
	v_mul_u32_u24_e32 v52, 0x1c0, v222
	v_lshlrev_b32_e32 v53, 3, v241
	v_add3_u32 v179, 0, v52, v53
	ds_store_2addr_b64 v178, v[6:7], v[2:3] offset1:28
	v_mul_f64 v[2:3], v[92:93], v[150:151]
	s_delay_alu instid0(VALU_DEP_1) | instskip(NEXT) | instid1(VALU_DEP_1)
	v_fma_f64 v[2:3], v[16:17], v[148:149], -v[2:3]
	v_add_f64 v[2:3], v[54:55], -v[2:3]
	s_delay_alu instid0(VALU_DEP_1) | instskip(SKIP_3) | instid1(VALU_DEP_1)
	v_fma_f64 v[6:7], v[54:55], 2.0, -v[2:3]
	ds_store_2addr_b64 v179, v[6:7], v[2:3] offset1:28
	v_mul_u32_u24_e32 v2, 0x1c0, v247
	v_lshlrev_b32_e32 v3, 3, v242
	v_add3_u32 v181, 0, v2, v3
	v_mul_f64 v[2:3], v[94:95], v[154:155]
	s_delay_alu instid0(VALU_DEP_1) | instskip(NEXT) | instid1(VALU_DEP_1)
	v_fma_f64 v[2:3], v[18:19], v[152:153], -v[2:3]
	v_add_f64 v[2:3], v[48:49], -v[2:3]
	s_delay_alu instid0(VALU_DEP_1) | instskip(SKIP_2) | instid1(VALU_DEP_1)
	v_fma_f64 v[6:7], v[48:49], 2.0, -v[2:3]
	v_mul_u32_u24_e32 v48, 0x1c0, v223
	v_lshlrev_b32_e32 v49, 3, v243
	v_add3_u32 v247, 0, v48, v49
	ds_store_2addr_b64 v181, v[6:7], v[2:3] offset1:28
	v_mul_f64 v[2:3], v[96:97], v[158:159]
	s_delay_alu instid0(VALU_DEP_1) | instskip(NEXT) | instid1(VALU_DEP_1)
	v_fma_f64 v[2:3], v[8:9], v[156:157], -v[2:3]
	v_add_f64 v[2:3], v[50:51], -v[2:3]
	s_delay_alu instid0(VALU_DEP_1) | instskip(SKIP_3) | instid1(VALU_DEP_1)
	v_fma_f64 v[6:7], v[50:51], 2.0, -v[2:3]
	ds_store_2addr_b64 v247, v[6:7], v[2:3] offset1:28
	v_mul_u32_u24_e32 v2, 0x1c0, v251
	v_lshlrev_b32_e32 v3, 3, v244
	;; [unrolled: 20-line block ×3, first 2 shown]
	v_add3_u32 v253, 0, v2, v3
	v_mul_f64 v[2:3], v[102:103], v[170:171]
	s_delay_alu instid0(VALU_DEP_1) | instskip(NEXT) | instid1(VALU_DEP_1)
	v_fma_f64 v[2:3], v[22:23], v[168:169], -v[2:3]
	v_add_f64 v[2:3], v[40:41], -v[2:3]
	s_delay_alu instid0(VALU_DEP_1) | instskip(SKIP_3) | instid1(VALU_DEP_2)
	v_fma_f64 v[6:7], v[40:41], 2.0, -v[2:3]
	v_mul_u32_u24_e32 v40, 0x1c0, v227
	v_lshlrev_b32_e32 v41, 3, v254
	v_lshl_add_u32 v254, v237, 3, 0
	v_add3_u32 v255, 0, v40, v41
	ds_store_2addr_b64 v253, v[6:7], v[2:3] offset1:28
	v_mul_f64 v[2:3], v[214:215], v[174:175]
	s_delay_alu instid0(VALU_DEP_1) | instskip(NEXT) | instid1(VALU_DEP_1)
	v_fma_f64 v[2:3], v[4:5], v[172:173], -v[2:3]
	v_add_f64 v[2:3], v[42:43], -v[2:3]
	s_delay_alu instid0(VALU_DEP_1)
	v_fma_f64 v[6:7], v[42:43], 2.0, -v[2:3]
	ds_store_2addr_b64 v255, v[6:7], v[2:3] offset1:28
	s_and_saveexec_b32 s1, s0
	s_cbranch_execz .LBB0_25
; %bb.24:
	scratch_load_b128 v[40:43], off, off offset:4 ; 16-byte Folded Reload
	v_add_nc_u32_e32 v6, 0x3800, v254
	s_waitcnt vmcnt(0)
	v_mul_f64 v[2:3], v[42:43], v[106:107]
	scratch_load_b128 v[40:43], off, off offset:44 ; 16-byte Folded Reload
	s_waitcnt vmcnt(0)
	v_fma_f64 v[2:3], v[42:43], v[104:105], -v[2:3]
	s_delay_alu instid0(VALU_DEP_1) | instskip(NEXT) | instid1(VALU_DEP_1)
	v_add_f64 v[2:3], v[0:1], -v[2:3]
	v_fma_f64 v[0:1], v[0:1], 2.0, -v[2:3]
	ds_store_2addr_b64 v6, v[0:1], v[2:3] offset0:112 offset1:140
.LBB0_25:
	s_or_b32 exec_lo, exec_lo, s1
	v_mul_f64 v[4:5], v[4:5], v[174:175]
	s_waitcnt lgkmcnt(0)
	s_barrier
	buffer_gl0_inv
	v_mul_f64 v[0:1], v[36:37], v[110:111]
	v_mul_f64 v[22:23], v[22:23], v[170:171]
	;; [unrolled: 1-line block ×16, first 2 shown]
	v_add_nc_u32_e32 v182, 0x1000, v233
	v_add_nc_u32_e32 v185, 0x1800, v233
	v_add_nc_u32_e32 v184, 0x2000, v233
	v_add_nc_u32_e32 v186, 0x2800, v233
	v_add_nc_u32_e32 v187, 0x3000, v233
	v_add_nc_u32_e32 v183, 0x800, v233
	v_add_nc_u32_e32 v188, 0x3800, v233
	scratch_load_b32 v219, off, off offset:36 ; 4-byte Folded Reload
	v_fma_f64 v[4:5], v[214:215], v[172:173], v[4:5]
	scratch_load_b32 v214, off, off offset:32 ; 4-byte Folded Reload
	v_fma_f64 v[0:1], v[80:81], v[108:109], v[0:1]
	v_fma_f64 v[22:23], v[102:103], v[168:169], v[22:23]
	;; [unrolled: 1-line block ×7, first 2 shown]
	ds_load_b64 v[76:77], v233
	v_fma_f64 v[6:7], v[84:85], v[116:117], v[6:7]
	v_fma_f64 v[32:33], v[86:87], v[120:121], v[32:33]
	;; [unrolled: 1-line block ×9, first 2 shown]
	v_add_nc_u32_e32 v85, 0x2400, v233
	v_add_nc_u32_e32 v84, 0x1c00, v233
	v_add_f64 v[4:5], v[70:71], -v[4:5]
	v_add_f64 v[0:1], v[196:197], -v[0:1]
	;; [unrolled: 1-line block ×17, first 2 shown]
	v_fma_f64 v[142:143], v[70:71], 2.0, -v[4:5]
	v_fma_f64 v[114:115], v[196:197], 2.0, -v[0:1]
	;; [unrolled: 1-line block ×17, first 2 shown]
	s_waitcnt vmcnt(1)
	v_lshl_add_u32 v215, v219, 3, 0
	ds_load_b64 v[72:73], v215
	s_waitcnt vmcnt(0)
	ds_load_b64 v[74:75], v214
	ds_load_b64 v[80:81], v234
	;; [unrolled: 1-line block ×3, first 2 shown]
	scratch_load_b32 v196, off, off offset:28 ; 4-byte Folded Reload
	s_waitcnt vmcnt(0)
	ds_load_b64 v[70:71], v196
	ds_load_b64 v[78:79], v233 offset:15232
	ds_load_2addr_b64 v[60:63], v182 offset0:48 offset1:104
	ds_load_2addr_b64 v[24:27], v185 offset0:16 offset1:72
	ds_load_2addr_b64 v[56:59], v184 offset0:96 offset1:152
	ds_load_2addr_b64 v[16:19], v186 offset0:64 offset1:120
	ds_load_2addr_b64 v[52:55], v187 offset0:144 offset1:200
	ds_load_2addr_b64 v[8:11], v183 offset0:80 offset1:136
	ds_load_2addr_b64 v[32:35], v185 offset0:128 offset1:184
	ds_load_2addr_b64 v[20:23], v186 offset0:176 offset1:232
	ds_load_2addr_b64 v[48:51], v182 offset0:160 offset1:216
	ds_load_2addr_b64 v[44:47], v85 offset0:80 offset1:136
	ds_load_2addr_b64 v[40:43], v188 offset1:56
	ds_load_2addr_b64 v[36:39], v183 offset0:192 offset1:248
	ds_load_2addr_b64 v[28:31], v84 offset0:112 offset1:168
	ds_load_2addr_b64 v[12:15], v187 offset0:32 offset1:88
	s_waitcnt lgkmcnt(0)
	s_barrier
	buffer_gl0_inv
	ds_store_2addr_b64 v250, v[114:115], v[0:1] offset1:28
	ds_store_2addr_b64 v252, v[116:117], v[2:3] offset1:28
	;; [unrolled: 1-line block ×17, first 2 shown]
	s_and_saveexec_b32 s1, s0
	s_cbranch_execz .LBB0_27
; %bb.26:
	scratch_load_b128 v[0:3], off, off offset:44 ; 16-byte Folded Reload
	s_waitcnt vmcnt(0)
	v_mul_f64 v[0:1], v[2:3], v[106:107]
	scratch_load_b128 v[2:5], off, off offset:4 ; 16-byte Folded Reload
	s_waitcnt vmcnt(0)
	v_fma_f64 v[0:1], v[4:5], v[104:105], v[0:1]
	v_add_nc_u32_e32 v4, 0x3800, v254
	s_delay_alu instid0(VALU_DEP_2) | instskip(NEXT) | instid1(VALU_DEP_1)
	v_add_f64 v[0:1], v[194:195], -v[0:1]
	v_fma_f64 v[2:3], v[194:195], 2.0, -v[0:1]
	ds_store_2addr_b64 v4, v[2:3], v[0:1] offset0:112 offset1:140
.LBB0_27:
	s_or_b32 exec_lo, exec_lo, s1
	v_mul_u32_u24_e32 v0, 6, v217
	s_waitcnt lgkmcnt(0)
	s_barrier
	buffer_gl0_inv
	ds_load_2addr_b64 v[4:7], v182 offset0:48 offset1:104
	v_dual_mov_b32 v235, v196 :: v_dual_lshlrev_b32 v86, 4, v0
	s_mov_b32 s6, 0x37e14327
	s_mov_b32 s16, 0xe976ee23
	;; [unrolled: 1-line block ×3, first 2 shown]
	s_clause 0x1
	global_load_b128 v[0:3], v86, s[4:5] offset:848
	global_load_b128 v[64:67], v86, s[4:5] offset:832
	s_mov_b32 s17, 0xbfe11646
	s_mov_b32 s0, 0x36b3c0b5
	;; [unrolled: 1-line block ×17, first 2 shown]
	v_add_nc_u32_e32 v207, 0x400, v233
	v_dual_mov_b32 v237, v215 :: v_dual_mov_b32 v236, v214
	s_waitcnt vmcnt(1) lgkmcnt(0)
	v_mul_f64 v[82:83], v[4:5], v[2:3]
	v_mul_f64 v[87:88], v[6:7], v[2:3]
	s_delay_alu instid0(VALU_DEP_2) | instskip(NEXT) | instid1(VALU_DEP_2)
	v_fma_f64 v[82:83], v[60:61], v[0:1], -v[82:83]
	v_fma_f64 v[100:101], v[62:63], v[0:1], -v[87:88]
	v_mul_f64 v[60:61], v[60:61], v[2:3]
	v_mul_f64 v[62:63], v[62:63], v[2:3]
	global_load_b128 v[87:90], v86, s[4:5] offset:864
	v_fma_f64 v[2:3], v[4:5], v[0:1], v[60:61]
	v_fma_f64 v[120:121], v[6:7], v[0:1], v[62:63]
	global_load_b128 v[60:63], v86, s[4:5] offset:880
	ds_load_2addr_b64 v[4:7], v184 offset0:96 offset1:152
	s_waitcnt vmcnt(0) lgkmcnt(0)
	v_mul_f64 v[0:1], v[4:5], v[62:63]
	v_mul_f64 v[91:92], v[6:7], v[62:63]
	s_delay_alu instid0(VALU_DEP_2) | instskip(NEXT) | instid1(VALU_DEP_2)
	v_fma_f64 v[0:1], v[56:57], v[60:61], -v[0:1]
	v_fma_f64 v[118:119], v[58:59], v[60:61], -v[91:92]
	v_mul_f64 v[56:57], v[56:57], v[62:63]
	v_mul_f64 v[58:59], v[58:59], v[62:63]
	s_delay_alu instid0(VALU_DEP_2) | instskip(NEXT) | instid1(VALU_DEP_2)
	v_fma_f64 v[4:5], v[4:5], v[60:61], v[56:57]
	v_fma_f64 v[126:127], v[6:7], v[60:61], v[58:59]
	s_clause 0x1
	global_load_b128 v[56:59], v86, s[4:5] offset:912
	global_load_b128 v[146:149], v86, s[4:5] offset:896
	scratch_load_b32 v218, off, off offset:24 ; 4-byte Folded Reload
	ds_load_2addr_b64 v[60:63], v187 offset0:144 offset1:200
	s_waitcnt vmcnt(2) lgkmcnt(0)
	v_mul_f64 v[91:92], v[62:63], v[58:59]
	v_mul_f64 v[6:7], v[60:61], v[58:59]
	s_delay_alu instid0(VALU_DEP_2) | instskip(SKIP_1) | instid1(VALU_DEP_3)
	v_fma_f64 v[124:125], v[54:55], v[56:57], -v[91:92]
	v_mul_f64 v[54:55], v[54:55], v[58:59]
	v_fma_f64 v[6:7], v[52:53], v[56:57], -v[6:7]
	v_mul_f64 v[52:53], v[52:53], v[58:59]
	s_delay_alu instid0(VALU_DEP_3) | instskip(SKIP_2) | instid1(VALU_DEP_3)
	v_fma_f64 v[136:137], v[62:63], v[56:57], v[54:55]
	s_waitcnt vmcnt(0)
	v_lshrrev_b16 v54, 3, v218
	v_fma_f64 v[52:53], v[60:61], v[56:57], v[52:53]
	ds_load_2addr_b64 v[59:62], v182 offset0:160 offset1:216
	v_and_b32_e32 v54, 31, v54
	s_delay_alu instid0(VALU_DEP_1) | instskip(NEXT) | instid1(VALU_DEP_1)
	v_mul_lo_u16 v54, v54, 37
	v_lshrrev_b16 v54, 8, v54
	s_delay_alu instid0(VALU_DEP_1) | instskip(NEXT) | instid1(VALU_DEP_1)
	v_mul_lo_u16 v54, v54, 56
	v_sub_nc_u16 v54, v218, v54
	s_delay_alu instid0(VALU_DEP_1) | instskip(NEXT) | instid1(VALU_DEP_1)
	v_and_b32_e32 v54, 0xff, v54
	v_mul_u32_u24_e32 v55, 6, v54
	v_lshl_add_u32 v208, v54, 3, 0
	s_delay_alu instid0(VALU_DEP_2) | instskip(NEXT) | instid1(VALU_DEP_2)
	v_lshlrev_b32_e32 v86, 4, v55
	v_add_nc_u32_e32 v209, 0x1800, v208
	v_add_nc_u32_e32 v210, 0x1c00, v208
	s_clause 0x1
	global_load_b128 v[55:58], v86, s[4:5] offset:848
	global_load_b128 v[178:181], v86, s[4:5] offset:832
	s_waitcnt vmcnt(1) lgkmcnt(0)
	v_mul_f64 v[91:92], v[59:60], v[57:58]
	s_delay_alu instid0(VALU_DEP_1) | instskip(SKIP_1) | instid1(VALU_DEP_1)
	v_fma_f64 v[106:107], v[48:49], v[55:56], -v[91:92]
	v_mul_f64 v[48:49], v[48:49], v[57:58]
	v_fma_f64 v[112:113], v[59:60], v[55:56], v[48:49]
	v_lshrrev_b16 v48, 3, v219
	s_delay_alu instid0(VALU_DEP_1) | instskip(NEXT) | instid1(VALU_DEP_1)
	v_and_b32_e32 v48, 31, v48
	v_mul_lo_u16 v48, v48, 37
	s_delay_alu instid0(VALU_DEP_1) | instskip(NEXT) | instid1(VALU_DEP_1)
	v_lshrrev_b16 v48, 8, v48
	v_mul_lo_u16 v48, v48, 56
	s_delay_alu instid0(VALU_DEP_1) | instskip(NEXT) | instid1(VALU_DEP_1)
	v_sub_nc_u16 v48, v219, v48
	v_and_b32_e32 v48, 0xff, v48
	s_delay_alu instid0(VALU_DEP_1) | instskip(SKIP_1) | instid1(VALU_DEP_2)
	v_mul_u32_u24_e32 v49, 6, v48
	v_lshl_add_u32 v211, v48, 3, 0
	v_lshlrev_b32_e32 v102, 4, v49
	s_clause 0x1
	global_load_b128 v[91:94], v102, s[4:5] offset:848
	global_load_b128 v[150:153], v102, s[4:5] offset:832
	v_add_nc_u32_e32 v213, 0x2800, v211
	v_add_nc_u32_e32 v212, 0x2000, v211
	s_waitcnt vmcnt(1)
	v_mul_f64 v[55:56], v[61:62], v[93:94]
	s_delay_alu instid0(VALU_DEP_1) | instskip(SKIP_1) | instid1(VALU_DEP_1)
	v_fma_f64 v[56:57], v[50:51], v[91:92], -v[55:56]
	v_mul_f64 v[49:50], v[50:51], v[93:94]
	v_fma_f64 v[58:59], v[61:62], v[91:92], v[49:50]
	ds_load_2addr_b64 v[60:63], v85 offset0:80 offset1:136
	s_clause 0x3
	global_load_b128 v[91:94], v86, s[4:5] offset:880
	global_load_b128 v[154:157], v86, s[4:5] offset:864
	;; [unrolled: 1-line block ×4, first 2 shown]
	s_waitcnt vmcnt(3) lgkmcnt(0)
	v_mul_f64 v[49:50], v[60:61], v[93:94]
	s_delay_alu instid0(VALU_DEP_1) | instskip(SKIP_1) | instid1(VALU_DEP_1)
	v_fma_f64 v[128:129], v[44:45], v[91:92], -v[49:50]
	v_mul_f64 v[44:45], v[44:45], v[93:94]
	v_fma_f64 v[132:133], v[60:61], v[91:92], v[44:45]
	s_waitcnt vmcnt(1)
	v_mul_f64 v[44:45], v[62:63], v[98:99]
	s_delay_alu instid0(VALU_DEP_1) | instskip(SKIP_1) | instid1(VALU_DEP_1)
	v_fma_f64 v[94:95], v[46:47], v[96:97], -v[44:45]
	v_mul_f64 v[44:45], v[46:47], v[98:99]
	v_fma_f64 v[96:97], v[62:63], v[96:97], v[44:45]
	s_clause 0x1
	global_load_b128 v[44:47], v86, s[4:5] offset:912
	global_load_b128 v[166:169], v86, s[4:5] offset:896
	ds_load_2addr_b64 v[60:63], v188 offset1:56
	s_waitcnt vmcnt(1) lgkmcnt(0)
	v_mul_f64 v[49:50], v[60:61], v[46:47]
	s_delay_alu instid0(VALU_DEP_1) | instskip(SKIP_1) | instid1(VALU_DEP_1)
	v_fma_f64 v[138:139], v[40:41], v[44:45], -v[49:50]
	v_mul_f64 v[40:41], v[40:41], v[46:47]
	v_fma_f64 v[142:143], v[60:61], v[44:45], v[40:41]
	s_clause 0x1
	global_load_b128 v[44:47], v102, s[4:5] offset:912
	global_load_b128 v[189:192], v102, s[4:5] offset:896
	s_waitcnt vmcnt(1)
	v_mul_f64 v[40:41], v[62:63], v[46:47]
	s_delay_alu instid0(VALU_DEP_1) | instskip(SKIP_1) | instid1(VALU_DEP_1)
	v_fma_f64 v[104:105], v[42:43], v[44:45], -v[40:41]
	v_mul_f64 v[40:41], v[42:43], v[46:47]
	v_fma_f64 v[110:111], v[62:63], v[44:45], v[40:41]
	ds_load_2addr_b64 v[40:43], v183 offset0:192 offset1:248
	s_waitcnt lgkmcnt(0)
	v_mul_f64 v[44:45], v[40:41], v[152:153]
	s_delay_alu instid0(VALU_DEP_1) | instskip(SKIP_1) | instid1(VALU_DEP_1)
	v_fma_f64 v[114:115], v[36:37], v[150:151], -v[44:45]
	v_mul_f64 v[36:37], v[36:37], v[152:153]
	v_fma_f64 v[122:123], v[40:41], v[150:151], v[36:37]
	v_lshrrev_b16 v36, 3, v228
	s_delay_alu instid0(VALU_DEP_1) | instskip(NEXT) | instid1(VALU_DEP_1)
	v_and_b32_e32 v36, 0xffff, v36
	v_mul_u32_u24_e32 v36, 0x2493, v36
	s_delay_alu instid0(VALU_DEP_1) | instskip(NEXT) | instid1(VALU_DEP_1)
	v_lshrrev_b32_e32 v36, 16, v36
	v_mul_lo_u16 v36, v36, 56
	s_delay_alu instid0(VALU_DEP_1) | instskip(NEXT) | instid1(VALU_DEP_1)
	v_sub_nc_u16 v36, v228, v36
	v_and_b32_e32 v36, 0xffff, v36
	s_delay_alu instid0(VALU_DEP_1) | instskip(NEXT) | instid1(VALU_DEP_1)
	v_mul_u32_u24_e32 v37, 6, v36
	v_lshlrev_b32_e32 v49, 4, v37
	s_clause 0x1
	global_load_b128 v[44:47], v49, s[4:5] offset:832
	global_load_b128 v[170:173], v49, s[4:5] offset:848
	s_waitcnt vmcnt(1)
	v_mul_f64 v[40:41], v[42:43], v[46:47]
	s_delay_alu instid0(VALU_DEP_1) | instskip(SKIP_1) | instid1(VALU_DEP_1)
	v_fma_f64 v[60:61], v[38:39], v[44:45], -v[40:41]
	v_mul_f64 v[37:38], v[38:39], v[46:47]
	v_fma_f64 v[62:63], v[42:43], v[44:45], v[37:38]
	ds_load_2addr_b64 v[37:40], v185 offset0:128 offset1:184
	s_waitcnt lgkmcnt(0)
	v_mul_f64 v[41:42], v[39:40], v[156:157]
	s_delay_alu instid0(VALU_DEP_1) | instskip(SKIP_1) | instid1(VALU_DEP_1)
	v_fma_f64 v[150:151], v[34:35], v[154:155], -v[41:42]
	v_mul_f64 v[34:35], v[34:35], v[156:157]
	v_fma_f64 v[152:153], v[39:40], v[154:155], v[34:35]
	v_mul_f64 v[34:35], v[37:38], v[89:90]
	s_delay_alu instid0(VALU_DEP_1) | instskip(SKIP_1) | instid1(VALU_DEP_1)
	v_fma_f64 v[162:163], v[32:33], v[87:88], -v[34:35]
	v_mul_f64 v[32:33], v[32:33], v[89:90]
	v_fma_f64 v[164:165], v[37:38], v[87:88], v[32:33]
	ds_load_2addr_b64 v[37:40], v185 offset0:16 offset1:72
	s_waitcnt lgkmcnt(0)
	v_mul_f64 v[32:33], v[39:40], v[89:90]
	s_waitcnt vmcnt(0)
	v_mul_f64 v[34:35], v[37:38], v[172:173]
	s_delay_alu instid0(VALU_DEP_2) | instskip(SKIP_1) | instid1(VALU_DEP_3)
	v_fma_f64 v[32:33], v[26:27], v[87:88], -v[32:33]
	v_mul_f64 v[26:27], v[26:27], v[89:90]
	v_fma_f64 v[98:99], v[24:25], v[170:171], -v[34:35]
	v_mul_f64 v[24:25], v[24:25], v[172:173]
	s_delay_alu instid0(VALU_DEP_3) | instskip(NEXT) | instid1(VALU_DEP_2)
	v_fma_f64 v[26:27], v[39:40], v[87:88], v[26:27]
	v_fma_f64 v[102:103], v[37:38], v[170:171], v[24:25]
	ds_load_2addr_b64 v[37:40], v84 offset0:112 offset1:168
	s_clause 0x1
	global_load_b128 v[41:44], v49, s[4:5] offset:864
	global_load_b128 v[84:87], v49, s[4:5] offset:880
	s_waitcnt lgkmcnt(0)
	v_mul_f64 v[24:25], v[37:38], v[160:161]
	s_delay_alu instid0(VALU_DEP_1) | instskip(SKIP_1) | instid1(VALU_DEP_1)
	v_fma_f64 v[140:141], v[28:29], v[158:159], -v[24:25]
	v_mul_f64 v[24:25], v[28:29], v[160:161]
	v_fma_f64 v[144:145], v[37:38], v[158:159], v[24:25]
	s_waitcnt vmcnt(1)
	v_mul_f64 v[24:25], v[39:40], v[43:44]
	s_delay_alu instid0(VALU_DEP_1)
	v_fma_f64 v[108:109], v[30:31], v[41:42], -v[24:25]
	v_mul_f64 v[24:25], v[30:31], v[43:44]
	ds_load_2addr_b64 v[28:31], v186 offset0:176 offset1:232
	v_fma_f64 v[116:117], v[39:40], v[41:42], v[24:25]
	s_waitcnt lgkmcnt(0)
	v_mul_f64 v[24:25], v[30:31], v[168:169]
	s_delay_alu instid0(VALU_DEP_1) | instskip(SKIP_1) | instid1(VALU_DEP_1)
	v_fma_f64 v[158:159], v[22:23], v[166:167], -v[24:25]
	v_mul_f64 v[22:23], v[22:23], v[168:169]
	v_fma_f64 v[160:161], v[30:31], v[166:167], v[22:23]
	v_mul_f64 v[22:23], v[28:29], v[148:149]
	s_delay_alu instid0(VALU_DEP_1)
	v_fma_f64 v[168:169], v[20:21], v[146:147], -v[22:23]
	v_mul_f64 v[20:21], v[20:21], v[148:149]
	ds_load_2addr_b64 v[22:25], v186 offset0:64 offset1:120
	v_fma_f64 v[172:173], v[28:29], v[146:147], v[20:21]
	s_waitcnt lgkmcnt(0)
	v_mul_f64 v[20:21], v[24:25], v[148:149]
	s_delay_alu instid0(VALU_DEP_1) | instskip(SKIP_1) | instid1(VALU_DEP_1)
	v_fma_f64 v[20:21], v[18:19], v[146:147], -v[20:21]
	v_mul_f64 v[18:19], v[18:19], v[148:149]
	v_fma_f64 v[18:19], v[24:25], v[146:147], v[18:19]
	s_waitcnt vmcnt(0)
	v_mul_f64 v[24:25], v[22:23], v[86:87]
	s_delay_alu instid0(VALU_DEP_1) | instskip(SKIP_1) | instid1(VALU_DEP_1)
	v_fma_f64 v[130:131], v[16:17], v[84:85], -v[24:25]
	v_mul_f64 v[16:17], v[16:17], v[86:87]
	v_fma_f64 v[134:135], v[22:23], v[84:85], v[16:17]
	ds_load_2addr_b64 v[22:25], v187 offset0:32 offset1:88
	s_clause 0x1
	global_load_b128 v[28:31], v49, s[4:5] offset:896
	global_load_b128 v[37:40], v49, s[4:5] offset:912
	s_waitcnt lgkmcnt(0)
	v_mul_f64 v[16:17], v[22:23], v[191:192]
	s_delay_alu instid0(VALU_DEP_1) | instskip(SKIP_3) | instid1(VALU_DEP_3)
	v_fma_f64 v[154:155], v[12:13], v[189:190], -v[16:17]
	v_mul_f64 v[12:13], v[12:13], v[191:192]
	v_add_nc_u32_e32 v192, 0x1400, v233
	v_add_nc_u32_e32 v191, 0x3400, v233
	v_fma_f64 v[156:157], v[22:23], v[189:190], v[12:13]
	v_add_f64 v[22:23], v[32:33], v[0:1]
	v_add_nc_u32_e32 v189, 0xc00, v233
	v_add_f64 v[0:1], v[0:1], -v[32:33]
	v_add_nc_u32_e32 v190, 0x2c00, v233
	s_waitcnt vmcnt(1)
	v_mul_f64 v[12:13], v[24:25], v[30:31]
	s_delay_alu instid0(VALU_DEP_1) | instskip(SKIP_3) | instid1(VALU_DEP_3)
	v_fma_f64 v[146:147], v[14:15], v[28:29], -v[12:13]
	v_mul_f64 v[12:13], v[14:15], v[30:31]
	v_add_f64 v[30:31], v[4:5], -v[26:27]
	v_add_f64 v[4:5], v[26:27], v[4:5]
	v_fma_f64 v[148:149], v[24:25], v[28:29], v[12:13]
	ds_load_2addr_b64 v[12:15], v183 offset0:80 offset1:136
	v_add_f64 v[28:29], v[2:3], -v[18:19]
	v_add_f64 v[2:3], v[2:3], v[18:19]
	s_waitcnt lgkmcnt(0)
	v_mul_f64 v[16:17], v[14:15], v[180:181]
	s_delay_alu instid0(VALU_DEP_2) | instskip(NEXT) | instid1(VALU_DEP_2)
	v_add_f64 v[193:194], v[4:5], -v[2:3]
	v_fma_f64 v[166:167], v[10:11], v[178:179], -v[16:17]
	v_mul_f64 v[10:11], v[10:11], v[180:181]
	s_delay_alu instid0(VALU_DEP_1) | instskip(SKIP_1) | instid1(VALU_DEP_1)
	v_fma_f64 v[170:171], v[14:15], v[178:179], v[10:11]
	v_mul_f64 v[10:11], v[12:13], v[66:67]
	v_fma_f64 v[174:175], v[8:9], v[64:65], -v[10:11]
	v_mul_f64 v[8:9], v[8:9], v[66:67]
	s_delay_alu instid0(VALU_DEP_1)
	v_fma_f64 v[178:179], v[12:13], v[64:65], v[8:9]
	v_mul_f64 v[12:13], v[80:81], v[66:67]
	ds_load_b64 v[8:9], v234
	ds_load_b64 v[180:181], v238
	s_waitcnt lgkmcnt(1)
	v_mul_f64 v[10:11], v[8:9], v[66:67]
	v_fma_f64 v[8:9], v[8:9], v[64:65], v[12:13]
	ds_load_b64 v[12:13], v233 offset:15232
	ds_load_b64 v[176:177], v196
	ds_load_b64 v[14:15], v233
	s_waitcnt vmcnt(0) lgkmcnt(2)
	v_mul_f64 v[16:17], v[12:13], v[39:40]
	v_fma_f64 v[10:11], v[80:81], v[64:65], -v[10:11]
	v_add_f64 v[34:35], v[8:9], -v[52:53]
	v_add_f64 v[8:9], v[8:9], v[52:53]
	s_delay_alu instid0(VALU_DEP_4) | instskip(SKIP_2) | instid1(VALU_DEP_4)
	v_fma_f64 v[64:65], v[78:79], v[37:38], -v[16:17]
	v_mul_f64 v[16:17], v[78:79], v[39:40]
	v_add_f64 v[39:40], v[30:31], v[28:29]
	v_add_f64 v[18:19], v[2:3], -v[8:9]
	s_delay_alu instid0(VALU_DEP_3)
	v_fma_f64 v[66:67], v[12:13], v[37:38], v[16:17]
	v_add_f64 v[12:13], v[10:11], v[6:7]
	v_add_f64 v[16:17], v[82:83], v[20:21]
	v_add_f64 v[37:38], v[30:31], -v[28:29]
	v_add_f64 v[28:29], v[28:29], -v[34:35]
	;; [unrolled: 1-line block ×3, first 2 shown]
	v_add_f64 v[39:40], v[39:40], v[34:35]
	v_add_f64 v[34:35], v[178:179], -v[136:137]
	v_add_f64 v[6:7], v[10:11], -v[6:7]
	v_add_f64 v[10:11], v[82:83], -v[20:21]
	v_add_f64 v[43:44], v[12:13], -v[22:23]
	v_add_f64 v[24:25], v[16:17], v[12:13]
	v_mul_f64 v[37:38], v[37:38], s[16:17]
	v_add_f64 v[12:13], v[16:17], -v[12:13]
	s_delay_alu instid0(VALU_DEP_4) | instskip(NEXT) | instid1(VALU_DEP_4)
	v_mul_f64 v[43:44], v[43:44], s[6:7]
	v_add_f64 v[24:25], v[22:23], v[24:25]
	v_add_f64 v[22:23], v[22:23], -v[16:17]
	v_fma_f64 v[16:17], v[28:29], s[18:19], -v[37:38]
	v_mul_f64 v[28:29], v[28:29], s[18:19]
	v_fma_f64 v[45:46], v[30:31], s[14:15], v[37:38]
	v_add_f64 v[41:42], v[76:77], v[24:25]
	v_fma_f64 v[49:50], v[22:23], s[0:1], v[43:44]
	v_mul_f64 v[22:23], v[22:23], s[0:1]
	v_fma_f64 v[28:29], v[30:31], s[20:21], -v[28:29]
	v_fma_f64 v[30:31], v[12:13], s[24:25], -v[43:44]
	v_fma_f64 v[16:17], v[39:40], s[2:3], v[16:17]
	ds_load_b64 v[76:77], v215
	ds_load_b64 v[78:79], v214
	s_waitcnt lgkmcnt(0)
	s_barrier
	buffer_gl0_inv
	v_fma_f64 v[45:46], v[39:40], s[2:3], v[45:46]
	v_lshl_add_u32 v214, v36, 3, 0
	s_delay_alu instid0(VALU_DEP_1) | instskip(SKIP_4) | instid1(VALU_DEP_3)
	v_add_nc_u32_e32 v216, 0x3800, v214
	v_add_nc_u32_e32 v215, 0x3000, v214
	v_fma_f64 v[24:25], v[24:25], s[12:13], v[41:42]
	v_fma_f64 v[12:13], v[12:13], s[22:23], -v[22:23]
	v_fma_f64 v[22:23], v[39:40], s[2:3], v[28:29]
	v_add_f64 v[28:29], v[30:31], v[24:25]
	v_add_f64 v[49:50], v[49:50], v[24:25]
	s_delay_alu instid0(VALU_DEP_4) | instskip(NEXT) | instid1(VALU_DEP_3)
	v_add_f64 v[12:13], v[12:13], v[24:25]
	v_add_f64 v[24:25], v[22:23], v[28:29]
	s_delay_alu instid0(VALU_DEP_3) | instskip(NEXT) | instid1(VALU_DEP_3)
	v_add_f64 v[80:81], v[45:46], v[49:50]
	v_add_f64 v[30:31], v[12:13], -v[16:17]
	v_add_f64 v[12:13], v[16:17], v[12:13]
	v_add_f64 v[16:17], v[28:29], -v[22:23]
	v_add_f64 v[22:23], v[162:163], v[118:119]
	ds_store_2addr_b64 v233, v[41:42], v[80:81] offset1:56
	ds_store_2addr_b64 v233, v[24:25], v[30:31] offset0:112 offset1:168
	v_add_f64 v[30:31], v[126:127], -v[164:165]
	ds_store_2addr_b64 v207, v[12:13], v[16:17] offset0:96 offset1:152
	v_add_f64 v[12:13], v[174:175], v[124:125]
	v_add_f64 v[16:17], v[100:101], v[168:169]
	s_delay_alu instid0(VALU_DEP_1) | instskip(SKIP_3) | instid1(VALU_DEP_4)
	v_add_f64 v[24:25], v[16:17], v[12:13]
	v_add_f64 v[28:29], v[16:17], -v[12:13]
	v_add_f64 v[12:13], v[12:13], -v[22:23]
	;; [unrolled: 1-line block ×3, first 2 shown]
	v_add_f64 v[22:23], v[22:23], v[24:25]
	v_add_f64 v[24:25], v[120:121], -v[172:173]
	s_delay_alu instid0(VALU_DEP_4) | instskip(NEXT) | instid1(VALU_DEP_3)
	v_mul_f64 v[12:13], v[12:13], s[6:7]
	v_add_f64 v[41:42], v[70:71], v[22:23]
	s_delay_alu instid0(VALU_DEP_3)
	v_add_f64 v[37:38], v[30:31], v[24:25]
	v_add_f64 v[39:40], v[30:31], -v[24:25]
	v_add_f64 v[24:25], v[24:25], -v[34:35]
	;; [unrolled: 1-line block ×3, first 2 shown]
	v_fma_f64 v[22:23], v[22:23], s[12:13], v[41:42]
	v_add_f64 v[34:35], v[37:38], v[34:35]
	v_mul_f64 v[37:38], v[39:40], s[16:17]
	v_mul_f64 v[39:40], v[24:25], s[18:19]
	s_delay_alu instid0(VALU_DEP_2) | instskip(SKIP_1) | instid1(VALU_DEP_3)
	v_fma_f64 v[24:25], v[24:25], s[18:19], -v[37:38]
	v_fma_f64 v[37:38], v[30:31], s[14:15], v[37:38]
	v_fma_f64 v[30:31], v[30:31], s[20:21], -v[39:40]
	v_add_f64 v[39:40], v[49:50], -v[45:46]
	s_delay_alu instid0(VALU_DEP_4) | instskip(NEXT) | instid1(VALU_DEP_3)
	v_fma_f64 v[24:25], v[34:35], s[2:3], v[24:25]
	v_fma_f64 v[30:31], v[34:35], s[2:3], v[30:31]
	ds_store_2addr_b64 v183, v[39:40], v[41:42] offset0:80 offset1:136
	v_mul_f64 v[39:40], v[16:17], s[0:1]
	v_fma_f64 v[16:17], v[16:17], s[0:1], v[12:13]
	v_fma_f64 v[12:13], v[28:29], s[24:25], -v[12:13]
	s_delay_alu instid0(VALU_DEP_3) | instskip(SKIP_1) | instid1(VALU_DEP_4)
	v_fma_f64 v[39:40], v[28:29], s[22:23], -v[39:40]
	v_fma_f64 v[28:29], v[34:35], s[2:3], v[37:38]
	v_add_f64 v[16:17], v[16:17], v[22:23]
	s_delay_alu instid0(VALU_DEP_4) | instskip(NEXT) | instid1(VALU_DEP_4)
	v_add_f64 v[12:13], v[12:13], v[22:23]
	v_add_f64 v[22:23], v[39:40], v[22:23]
	v_add_f64 v[39:40], v[170:171], -v[142:143]
	s_delay_alu instid0(VALU_DEP_4) | instskip(NEXT) | instid1(VALU_DEP_3)
	v_add_f64 v[34:35], v[28:29], v[16:17]
	v_add_f64 v[37:38], v[22:23], -v[24:25]
	v_add_f64 v[22:23], v[24:25], v[22:23]
	ds_store_b64 v246, v[34:35]
	v_add_f64 v[34:35], v[30:31], v[12:13]
	v_add_f64 v[12:13], v[12:13], -v[30:31]
	v_add_f64 v[24:25], v[150:151], v[128:129]
	ds_store_2addr_b64 v189, v[34:35], v[37:38] offset0:120 offset1:176
	ds_store_2addr_b64 v182, v[22:23], v[12:13] offset0:104 offset1:160
	v_add_f64 v[12:13], v[166:167], v[138:139]
	v_add_f64 v[22:23], v[106:107], v[158:159]
	v_add_f64 v[34:35], v[112:113], -v[160:161]
	v_add_f64 v[37:38], v[132:133], -v[152:153]
	v_add_f64 v[112:113], v[112:113], v[160:161]
	v_add_f64 v[106:107], v[106:107], -v[158:159]
	v_add_f64 v[49:50], v[12:13], -v[24:25]
	;; [unrolled: 3-line block ×4, first 2 shown]
	v_mul_f64 v[49:50], v[49:50], s[6:7]
	v_add_f64 v[30:31], v[24:25], v[30:31]
	v_add_f64 v[24:25], v[24:25], -v[22:23]
	v_mul_f64 v[41:42], v[41:42], s[16:17]
	v_add_f64 v[43:44], v[43:44], v[39:40]
	v_add_f64 v[39:40], v[122:123], -v[110:111]
	v_add_f64 v[45:46], v[74:75], v[30:31]
	v_fma_f64 v[74:75], v[24:25], s[0:1], v[49:50]
	v_fma_f64 v[22:23], v[34:35], s[18:19], -v[41:42]
	v_mul_f64 v[34:35], v[34:35], s[18:19]
	v_mul_f64 v[24:25], v[24:25], s[0:1]
	v_fma_f64 v[70:71], v[37:38], s[14:15], v[41:42]
	v_fma_f64 v[30:31], v[30:31], s[12:13], v[45:46]
	;; [unrolled: 1-line block ×3, first 2 shown]
	v_fma_f64 v[34:35], v[37:38], s[20:21], -v[34:35]
	v_fma_f64 v[37:38], v[12:13], s[24:25], -v[49:50]
	;; [unrolled: 1-line block ×3, first 2 shown]
	v_fma_f64 v[70:71], v[43:44], s[2:3], v[70:71]
	v_add_f64 v[74:75], v[74:75], v[30:31]
	v_fma_f64 v[24:25], v[43:44], s[2:3], v[34:35]
	v_add_f64 v[34:35], v[37:38], v[30:31]
	v_add_f64 v[12:13], v[12:13], v[30:31]
	s_delay_alu instid0(VALU_DEP_4) | instskip(NEXT) | instid1(VALU_DEP_3)
	v_add_f64 v[54:55], v[70:71], v[74:75]
	v_add_f64 v[30:31], v[24:25], v[34:35]
	s_delay_alu instid0(VALU_DEP_3)
	v_add_f64 v[37:38], v[12:13], -v[22:23]
	v_add_f64 v[12:13], v[22:23], v[12:13]
	v_add_f64 v[22:23], v[34:35], -v[24:25]
	v_add_f64 v[24:25], v[140:141], v[94:95]
	;; [unrolled: 2-line block ×3, first 2 shown]
	v_add_f64 v[94:95], v[94:95], -v[140:141]
	ds_store_2addr_b64 v209, v[45:46], v[54:55] offset0:16 offset1:72
	ds_store_2addr_b64 v209, v[30:31], v[37:38] offset0:128 offset1:184
	v_add_f64 v[37:38], v[96:97], -v[144:145]
	ds_store_2addr_b64 v210, v[12:13], v[22:23] offset0:112 offset1:168
	v_add_f64 v[12:13], v[114:115], v[104:105]
	v_add_f64 v[22:23], v[56:57], v[154:155]
	v_add_f64 v[56:57], v[56:57], -v[154:155]
	v_add_f64 v[96:97], v[144:145], v[96:97]
	v_add_f64 v[41:42], v[37:38], -v[34:35]
	;; [unrolled: 2-line block ×4, first 2 shown]
	v_add_f64 v[37:38], v[39:40], -v[37:38]
	v_add_f64 v[12:13], v[22:23], -v[12:13]
	v_mul_f64 v[41:42], v[41:42], s[16:17]
	v_add_f64 v[43:44], v[43:44], v[39:40]
	v_mul_f64 v[49:50], v[49:50], s[6:7]
	v_add_f64 v[30:31], v[24:25], v[30:31]
	v_add_f64 v[24:25], v[24:25], -v[22:23]
	v_add_f64 v[39:40], v[62:63], -v[66:67]
	v_fma_f64 v[22:23], v[34:35], s[18:19], -v[41:42]
	v_mul_f64 v[34:35], v[34:35], s[18:19]
	v_fma_f64 v[54:55], v[37:38], s[14:15], v[41:42]
	v_add_f64 v[45:46], v[72:73], v[30:31]
	v_fma_f64 v[72:73], v[24:25], s[0:1], v[49:50]
	v_mul_f64 v[24:25], v[24:25], s[0:1]
	v_fma_f64 v[22:23], v[43:44], s[2:3], v[22:23]
	v_fma_f64 v[34:35], v[37:38], s[20:21], -v[34:35]
	v_fma_f64 v[37:38], v[12:13], s[24:25], -v[49:50]
	v_fma_f64 v[30:31], v[30:31], s[12:13], v[45:46]
	v_fma_f64 v[54:55], v[43:44], s[2:3], v[54:55]
	v_fma_f64 v[12:13], v[12:13], s[22:23], -v[24:25]
	v_fma_f64 v[24:25], v[43:44], s[2:3], v[34:35]
	s_delay_alu instid0(VALU_DEP_4) | instskip(SKIP_1) | instid1(VALU_DEP_4)
	v_add_f64 v[34:35], v[37:38], v[30:31]
	v_add_f64 v[72:73], v[72:73], v[30:31]
	;; [unrolled: 1-line block ×3, first 2 shown]
	s_delay_alu instid0(VALU_DEP_3) | instskip(NEXT) | instid1(VALU_DEP_3)
	v_add_f64 v[30:31], v[24:25], v[34:35]
	v_add_f64 v[47:48], v[54:55], v[72:73]
	s_delay_alu instid0(VALU_DEP_3)
	v_add_f64 v[37:38], v[12:13], -v[22:23]
	v_add_f64 v[12:13], v[22:23], v[12:13]
	v_add_f64 v[22:23], v[34:35], -v[24:25]
	v_add_f64 v[24:25], v[108:109], v[130:131]
	v_add_f64 v[34:35], v[102:103], -v[148:149]
	ds_store_2addr_b64 v212, v[45:46], v[47:48] offset0:152 offset1:208
	ds_store_2addr_b64 v213, v[30:31], v[37:38] offset0:8 offset1:64
	v_add_f64 v[37:38], v[134:135], -v[116:117]
	ds_store_2addr_b64 v213, v[12:13], v[22:23] offset0:120 offset1:176
	v_add_f64 v[12:13], v[60:61], v[64:65]
	v_add_f64 v[22:23], v[98:99], v[146:147]
	v_add_f64 v[60:61], v[60:61], -v[64:65]
	v_add_f64 v[64:65], v[116:117], v[134:135]
	v_add_f64 v[41:42], v[37:38], -v[34:35]
	;; [unrolled: 2-line block ×4, first 2 shown]
	v_add_f64 v[37:38], v[39:40], -v[37:38]
	v_add_f64 v[12:13], v[22:23], -v[12:13]
	v_mul_f64 v[41:42], v[41:42], s[16:17]
	v_add_f64 v[43:44], v[43:44], v[39:40]
	v_mul_f64 v[47:48], v[47:48], s[6:7]
	v_add_f64 v[30:31], v[24:25], v[30:31]
	v_add_f64 v[24:25], v[24:25], -v[22:23]
	v_fma_f64 v[22:23], v[34:35], s[18:19], -v[41:42]
	v_mul_f64 v[34:35], v[34:35], s[18:19]
	v_fma_f64 v[49:50], v[37:38], s[14:15], v[41:42]
	v_add_f64 v[45:46], v[68:69], v[30:31]
	v_fma_f64 v[68:69], v[24:25], s[0:1], v[47:48]
	v_mul_f64 v[24:25], v[24:25], s[0:1]
	v_fma_f64 v[22:23], v[43:44], s[2:3], v[22:23]
	v_fma_f64 v[34:35], v[37:38], s[20:21], -v[34:35]
	v_fma_f64 v[36:37], v[12:13], s[24:25], -v[47:48]
	v_fma_f64 v[30:31], v[30:31], s[12:13], v[45:46]
	v_fma_f64 v[49:50], v[43:44], s[2:3], v[49:50]
	v_fma_f64 v[12:13], v[12:13], s[22:23], -v[24:25]
	v_fma_f64 v[24:25], v[43:44], s[2:3], v[34:35]
	s_delay_alu instid0(VALU_DEP_4) | instskip(SKIP_1) | instid1(VALU_DEP_4)
	v_add_f64 v[34:35], v[36:37], v[30:31]
	v_add_f64 v[68:69], v[68:69], v[30:31]
	;; [unrolled: 1-line block ×3, first 2 shown]
	s_delay_alu instid0(VALU_DEP_3) | instskip(NEXT) | instid1(VALU_DEP_3)
	v_add_f64 v[30:31], v[24:25], v[34:35]
	v_add_f64 v[80:81], v[49:50], v[68:69]
	s_delay_alu instid0(VALU_DEP_3)
	v_add_f64 v[36:37], v[12:13], -v[22:23]
	v_add_f64 v[12:13], v[22:23], v[12:13]
	v_add_f64 v[22:23], v[34:35], -v[24:25]
	v_add_f64 v[20:21], v[68:69], -v[49:50]
	;; [unrolled: 1-line block ×4, first 2 shown]
	ds_store_2addr_b64 v215, v[45:46], v[80:81] offset0:32 offset1:88
	ds_store_2addr_b64 v215, v[30:31], v[36:37] offset0:144 offset1:200
	ds_store_2addr_b64 v216, v[12:13], v[22:23] offset1:56
	v_add_f64 v[12:13], v[2:3], v[8:9]
	v_add_f64 v[8:9], v[8:9], -v[4:5]
	v_add_f64 v[22:23], v[0:1], v[10:11]
	v_add_f64 v[0:1], v[10:11], -v[6:7]
	s_delay_alu instid0(VALU_DEP_4)
	v_add_f64 v[2:3], v[4:5], v[12:13]
	v_add_f64 v[4:5], v[16:17], -v[28:29]
	v_add_f64 v[12:13], v[74:75], -v[70:71]
	;; [unrolled: 1-line block ×3, first 2 shown]
	ds_store_b64 v233, v[4:5] offset:5824
	ds_store_b64 v208, v[12:13] offset:8960
	;; [unrolled: 1-line block ×4, first 2 shown]
	s_waitcnt lgkmcnt(0)
	s_barrier
	buffer_gl0_inv
	ds_load_b64 v[80:81], v235
	ds_load_b64 v[82:83], v236
	;; [unrolled: 1-line block ×5, first 2 shown]
	s_clause 0x1
	scratch_load_b32 v240, off, off offset:72
	scratch_load_b32 v239, off, off offset:80
	v_add_f64 v[70:71], v[22:23], v[6:7]
	v_mul_f64 v[72:73], v[8:9], s[6:7]
	v_mul_f64 v[74:75], v[24:25], s[16:17]
	v_add_f64 v[195:196], v[14:15], v[2:3]
	v_mul_f64 v[6:7], v[0:1], s[18:19]
	v_mul_f64 v[4:5], v[193:194], s[0:1]
	s_delay_alu instid0(VALU_DEP_4) | instskip(NEXT) | instid1(VALU_DEP_4)
	v_fma_f64 v[0:1], v[0:1], s[18:19], -v[74:75]
	v_fma_f64 v[197:198], v[2:3], s[12:13], v[195:196]
	s_delay_alu instid0(VALU_DEP_4)
	v_fma_f64 v[6:7], v[68:69], s[20:21], -v[6:7]
	v_fma_f64 v[2:3], v[18:19], s[24:25], -v[72:73]
	v_fma_f64 v[68:69], v[68:69], s[14:15], v[74:75]
	v_fma_f64 v[72:73], v[193:194], s[0:1], v[72:73]
	v_fma_f64 v[4:5], v[18:19], s[22:23], -v[4:5]
	v_fma_f64 v[199:200], v[70:71], s[2:3], v[0:1]
	v_fma_f64 v[201:202], v[70:71], s[2:3], v[6:7]
	v_add_f64 v[205:206], v[2:3], v[197:198]
	v_fma_f64 v[68:69], v[70:71], s[2:3], v[68:69]
	v_add_f64 v[70:71], v[72:73], v[197:198]
	v_add_f64 v[203:204], v[4:5], v[197:198]
	s_delay_alu instid0(VALU_DEP_2) | instskip(NEXT) | instid1(VALU_DEP_2)
	v_add_f64 v[72:73], v[70:71], -v[68:69]
	v_add_f64 v[74:75], v[199:200], v[203:204]
	v_add_f64 v[68:69], v[68:69], v[70:71]
	s_waitcnt vmcnt(1)
	ds_load_b64 v[92:93], v240
	s_waitcnt vmcnt(0)
	ds_load_b64 v[90:91], v239
	ds_load_2addr_b64 v[8:11], v187 offset0:88 offset1:144
	ds_load_2addr_b64 v[4:7], v185 offset0:72 offset1:128
	ds_load_2addr_b64 v[32:35], v185 offset0:184 offset1:240
	ds_load_2addr_b64 v[24:27], v186 offset0:8 offset1:64
	ds_load_2addr_b64 v[40:43], v186 offset0:120 offset1:176
	ds_load_2addr_b64 v[12:15], v184 offset0:152 offset1:208
	ds_load_2addr_b64 v[48:51], v184 offset0:40 offset1:96
	ds_load_2addr_b64 v[52:55], v188 offset0:56 offset1:112
	ds_load_2addr_stride64_b64 v[0:3], v233 offset1:7
	ds_load_2addr_b64 v[16:19], v192 offset0:88 offset1:144
	ds_load_2addr_b64 v[20:23], v190 offset0:104 offset1:160
	ds_load_2addr_b64 v[28:31], v189 offset0:120 offset1:176
	ds_load_2addr_b64 v[36:39], v191 offset0:72 offset1:128
	ds_load_2addr_b64 v[44:47], v182 offset0:104 offset1:160
	s_waitcnt lgkmcnt(0)
	s_barrier
	buffer_gl0_inv
	ds_store_2addr_b64 v233, v[195:196], v[72:73] offset1:56
	v_add_f64 v[72:73], v[205:206], -v[201:202]
	v_add_f64 v[184:185], v[203:204], -v[199:200]
	v_add_f64 v[186:187], v[201:202], v[205:206]
	ds_store_2addr_b64 v233, v[72:73], v[74:75] offset0:112 offset1:168
	v_add_f64 v[72:73], v[178:179], v[136:137]
	v_add_f64 v[74:75], v[120:121], v[172:173]
	;; [unrolled: 1-line block ×3, first 2 shown]
	ds_store_2addr_b64 v207, v[184:185], v[186:187] offset0:96 offset1:152
	v_add_f64 v[70:71], v[74:75], v[72:73]
	v_add_f64 v[136:137], v[72:73], -v[120:121]
	v_add_f64 v[72:73], v[74:75], -v[72:73]
	s_delay_alu instid0(VALU_DEP_3) | instskip(SKIP_1) | instid1(VALU_DEP_4)
	v_add_f64 v[70:71], v[120:121], v[70:71]
	v_add_f64 v[120:121], v[120:121], -v[74:75]
	v_mul_f64 v[136:137], v[136:137], s[6:7]
	s_delay_alu instid0(VALU_DEP_3) | instskip(NEXT) | instid1(VALU_DEP_2)
	v_add_f64 v[126:127], v[176:177], v[70:71]
	v_fma_f64 v[164:165], v[120:121], s[0:1], v[136:137]
	ds_store_2addr_b64 v183, v[68:69], v[126:127] offset0:80 offset1:136
	v_add_f64 v[68:69], v[100:101], -v[168:169]
	v_add_f64 v[100:101], v[118:119], -v[162:163]
	;; [unrolled: 1-line block ×3, first 2 shown]
	v_fma_f64 v[70:71], v[70:71], s[12:13], v[126:127]
	s_delay_alu instid0(VALU_DEP_3) | instskip(SKIP_1) | instid1(VALU_DEP_4)
	v_add_f64 v[124:125], v[100:101], -v[68:69]
	v_add_f64 v[126:127], v[100:101], v[68:69]
	v_add_f64 v[68:69], v[68:69], -v[118:119]
	v_add_f64 v[100:101], v[118:119], -v[100:101]
	v_add_f64 v[164:165], v[164:165], v[70:71]
	v_mul_f64 v[124:125], v[124:125], s[16:17]
	v_add_f64 v[126:127], v[126:127], v[118:119]
	s_delay_alu instid0(VALU_DEP_2) | instskip(SKIP_3) | instid1(VALU_DEP_4)
	v_fma_f64 v[74:75], v[68:69], s[18:19], -v[124:125]
	v_mul_f64 v[68:69], v[68:69], s[18:19]
	v_fma_f64 v[162:163], v[100:101], s[14:15], v[124:125]
	v_add_f64 v[124:125], v[128:129], -v[150:151]
	v_fma_f64 v[74:75], v[126:127], s[2:3], v[74:75]
	s_delay_alu instid0(VALU_DEP_4)
	v_fma_f64 v[68:69], v[100:101], s[20:21], -v[68:69]
	v_mul_f64 v[100:101], v[120:121], s[0:1]
	v_fma_f64 v[162:163], v[126:127], s[2:3], v[162:163]
	v_add_f64 v[120:121], v[152:153], v[132:133]
	v_add_f64 v[128:129], v[124:125], -v[106:107]
	v_add_f64 v[132:133], v[124:125], v[106:107]
	v_fma_f64 v[68:69], v[126:127], s[2:3], v[68:69]
	v_fma_f64 v[100:101], v[72:73], s[22:23], -v[100:101]
	v_fma_f64 v[72:73], v[72:73], s[24:25], -v[136:137]
	v_add_f64 v[168:169], v[164:165], -v[162:163]
	v_mul_f64 v[128:129], v[128:129], s[16:17]
	s_delay_alu instid0(VALU_DEP_4) | instskip(NEXT) | instid1(VALU_DEP_4)
	v_add_f64 v[100:101], v[100:101], v[70:71]
	v_add_f64 v[70:71], v[72:73], v[70:71]
	ds_store_b64 v246, v[168:169]
	v_add_f64 v[72:73], v[100:101], -v[74:75]
	v_add_f64 v[118:119], v[68:69], v[70:71]
	ds_store_2addr_b64 v182, v[72:73], v[118:119] offset0:104 offset1:160
	v_add_f64 v[72:73], v[170:171], v[142:143]
	v_add_f64 v[118:119], v[166:167], -v[138:139]
	s_delay_alu instid0(VALU_DEP_2) | instskip(SKIP_1) | instid1(VALU_DEP_3)
	v_add_f64 v[126:127], v[112:113], v[72:73]
	v_add_f64 v[136:137], v[72:73], -v[120:121]
	v_add_f64 v[124:125], v[118:119], -v[124:125]
	v_add_f64 v[132:133], v[132:133], v[118:119]
	v_add_f64 v[72:73], v[112:113], -v[72:73]
	v_add_f64 v[126:127], v[120:121], v[126:127]
	v_add_f64 v[120:121], v[120:121], -v[112:113]
	v_mul_f64 v[136:137], v[136:137], s[6:7]
	v_fma_f64 v[138:139], v[124:125], s[14:15], v[128:129]
	s_delay_alu instid0(VALU_DEP_4) | instskip(NEXT) | instid1(VALU_DEP_4)
	v_add_f64 v[78:79], v[78:79], v[126:127]
	v_mul_f64 v[112:113], v[120:121], s[0:1]
	s_delay_alu instid0(VALU_DEP_4) | instskip(NEXT) | instid1(VALU_DEP_4)
	v_fma_f64 v[142:143], v[120:121], s[0:1], v[136:137]
	v_fma_f64 v[138:139], v[132:133], s[2:3], v[138:139]
	s_delay_alu instid0(VALU_DEP_4) | instskip(NEXT) | instid1(VALU_DEP_1)
	v_fma_f64 v[126:127], v[126:127], s[12:13], v[78:79]
	v_add_f64 v[142:143], v[142:143], v[126:127]
	s_delay_alu instid0(VALU_DEP_1) | instskip(SKIP_4) | instid1(VALU_DEP_3)
	v_add_f64 v[150:151], v[142:143], -v[138:139]
	ds_store_2addr_b64 v209, v[78:79], v[150:151] offset0:16 offset1:72
	v_add_f64 v[78:79], v[106:107], -v[118:119]
	v_fma_f64 v[118:119], v[72:73], s[24:25], -v[136:137]
	v_fma_f64 v[72:73], v[72:73], s[22:23], -v[112:113]
	v_fma_f64 v[106:107], v[78:79], s[18:19], -v[128:129]
	v_mul_f64 v[78:79], v[78:79], s[18:19]
	s_delay_alu instid0(VALU_DEP_4) | instskip(NEXT) | instid1(VALU_DEP_4)
	v_add_f64 v[112:113], v[118:119], v[126:127]
	v_add_f64 v[72:73], v[72:73], v[126:127]
	s_delay_alu instid0(VALU_DEP_4) | instskip(NEXT) | instid1(VALU_DEP_4)
	v_fma_f64 v[106:107], v[132:133], s[2:3], v[106:107]
	v_fma_f64 v[78:79], v[124:125], s[20:21], -v[78:79]
	s_delay_alu instid0(VALU_DEP_2) | instskip(NEXT) | instid1(VALU_DEP_2)
	v_add_f64 v[120:121], v[106:107], v[72:73]
	v_fma_f64 v[78:79], v[132:133], s[2:3], v[78:79]
	v_add_f64 v[72:73], v[72:73], -v[106:107]
	v_add_f64 v[106:107], v[94:95], -v[56:57]
	s_delay_alu instid0(VALU_DEP_3) | instskip(SKIP_1) | instid1(VALU_DEP_3)
	v_add_f64 v[118:119], v[112:113], -v[78:79]
	v_add_f64 v[78:79], v[78:79], v[112:113]
	v_mul_f64 v[106:107], v[106:107], s[16:17]
	ds_store_2addr_b64 v209, v[118:119], v[120:121] offset0:128 offset1:184
	ds_store_2addr_b64 v210, v[72:73], v[78:79] offset0:112 offset1:168
	v_add_f64 v[72:73], v[122:123], v[110:111]
	v_add_f64 v[78:79], v[114:115], -v[104:105]
	v_add_f64 v[110:111], v[94:95], v[56:57]
	s_delay_alu instid0(VALU_DEP_3) | instskip(SKIP_1) | instid1(VALU_DEP_4)
	v_add_f64 v[104:105], v[58:59], v[72:73]
	v_add_f64 v[112:113], v[72:73], -v[96:97]
	v_add_f64 v[94:95], v[78:79], -v[94:95]
	s_delay_alu instid0(VALU_DEP_4)
	v_add_f64 v[110:111], v[110:111], v[78:79]
	v_add_f64 v[56:57], v[56:57], -v[78:79]
	v_add_f64 v[104:105], v[96:97], v[104:105]
	v_add_f64 v[96:97], v[96:97], -v[58:59]
	v_mul_f64 v[112:113], v[112:113], s[6:7]
	v_fma_f64 v[114:115], v[94:95], s[14:15], v[106:107]
	v_add_f64 v[58:59], v[58:59], -v[72:73]
	v_fma_f64 v[72:73], v[56:57], s[18:19], -v[106:107]
	v_mul_f64 v[56:57], v[56:57], s[18:19]
	v_add_f64 v[76:77], v[76:77], v[104:105]
	v_fma_f64 v[118:119], v[96:97], s[0:1], v[112:113]
	v_fma_f64 v[114:115], v[110:111], s[2:3], v[114:115]
	v_fma_f64 v[78:79], v[58:59], s[24:25], -v[112:113]
	v_fma_f64 v[72:73], v[110:111], s[2:3], v[72:73]
	v_fma_f64 v[56:57], v[94:95], s[20:21], -v[56:57]
	v_fma_f64 v[104:105], v[104:105], s[12:13], v[76:77]
	s_delay_alu instid0(VALU_DEP_2) | instskip(NEXT) | instid1(VALU_DEP_2)
	v_fma_f64 v[56:57], v[110:111], s[2:3], v[56:57]
	v_add_f64 v[118:119], v[118:119], v[104:105]
	s_delay_alu instid0(VALU_DEP_1) | instskip(SKIP_2) | instid1(VALU_DEP_1)
	v_add_f64 v[120:121], v[118:119], -v[114:115]
	ds_store_2addr_b64 v212, v[76:77], v[120:121] offset0:152 offset1:208
	v_mul_f64 v[76:77], v[96:97], s[0:1]
	v_fma_f64 v[58:59], v[58:59], s[22:23], -v[76:77]
	v_add_f64 v[76:77], v[78:79], v[104:105]
	s_delay_alu instid0(VALU_DEP_2) | instskip(NEXT) | instid1(VALU_DEP_2)
	v_add_f64 v[58:59], v[58:59], v[104:105]
	v_add_f64 v[78:79], v[76:77], -v[56:57]
	v_add_f64 v[56:57], v[56:57], v[76:77]
	s_delay_alu instid0(VALU_DEP_3)
	v_add_f64 v[94:95], v[72:73], v[58:59]
	v_add_f64 v[58:59], v[58:59], -v[72:73]
	ds_store_2addr_b64 v213, v[78:79], v[94:95] offset0:8 offset1:64
	ds_store_2addr_b64 v213, v[58:59], v[56:57] offset0:120 offset1:176
	v_add_f64 v[56:57], v[62:63], v[66:67]
	v_add_f64 v[58:59], v[102:103], v[148:149]
	v_add_f64 v[62:63], v[98:99], -v[146:147]
	v_add_f64 v[66:67], v[130:131], -v[108:109]
	s_delay_alu instid0(VALU_DEP_4) | instskip(NEXT) | instid1(VALU_DEP_4)
	v_add_f64 v[96:97], v[56:57], -v[64:65]
	v_add_f64 v[72:73], v[58:59], v[56:57]
	v_add_f64 v[56:57], v[58:59], -v[56:57]
	s_delay_alu instid0(VALU_DEP_4)
	v_add_f64 v[76:77], v[66:67], -v[62:63]
	v_add_f64 v[78:79], v[66:67], v[62:63]
	v_add_f64 v[66:67], v[60:61], -v[66:67]
	v_mul_f64 v[96:97], v[96:97], s[6:7]
	v_add_f64 v[72:73], v[64:65], v[72:73]
	v_add_f64 v[64:65], v[64:65], -v[58:59]
	v_mul_f64 v[76:77], v[76:77], s[16:17]
	v_add_f64 v[78:79], v[78:79], v[60:61]
	v_add_f64 v[60:61], v[62:63], -v[60:61]
	v_add_f64 v[94:95], v[180:181], v[72:73]
	v_mul_f64 v[62:63], v[64:65], s[0:1]
	v_fma_f64 v[102:103], v[64:65], s[0:1], v[96:97]
	v_fma_f64 v[64:65], v[56:57], s[24:25], -v[96:97]
	v_fma_f64 v[58:59], v[60:61], s[18:19], -v[76:77]
	v_mul_f64 v[60:61], v[60:61], s[18:19]
	v_fma_f64 v[98:99], v[66:67], s[14:15], v[76:77]
	v_fma_f64 v[72:73], v[72:73], s[12:13], v[94:95]
	v_fma_f64 v[56:57], v[56:57], s[22:23], -v[62:63]
	v_fma_f64 v[58:59], v[78:79], s[2:3], v[58:59]
	v_fma_f64 v[60:61], v[66:67], s[20:21], -v[60:61]
	v_fma_f64 v[98:99], v[78:79], s[2:3], v[98:99]
	v_add_f64 v[62:63], v[64:65], v[72:73]
	v_add_f64 v[56:57], v[56:57], v[72:73]
	;; [unrolled: 1-line block ×3, first 2 shown]
	v_fma_f64 v[60:61], v[78:79], s[2:3], v[60:61]
	s_delay_alu instid0(VALU_DEP_3) | instskip(SKIP_1) | instid1(VALU_DEP_4)
	v_add_f64 v[66:67], v[58:59], v[56:57]
	v_add_f64 v[56:57], v[56:57], -v[58:59]
	v_add_f64 v[104:105], v[102:103], -v[98:99]
	s_delay_alu instid0(VALU_DEP_4)
	v_add_f64 v[58:59], v[60:61], v[62:63]
	v_add_f64 v[64:65], v[62:63], -v[60:61]
	ds_store_2addr_b64 v215, v[94:95], v[104:105] offset0:32 offset1:88
	ds_store_2addr_b64 v216, v[56:57], v[58:59] offset1:56
	v_add_f64 v[56:57], v[70:71], -v[68:69]
	v_add_f64 v[58:59], v[74:75], v[100:101]
	ds_store_2addr_b64 v215, v[64:65], v[66:67] offset0:144 offset1:200
	ds_store_2addr_b64 v189, v[56:57], v[58:59] offset0:120 offset1:176
	v_add_f64 v[56:57], v[114:115], v[118:119]
	v_add_f64 v[58:59], v[98:99], v[102:103]
	ds_store_b64 v211, v[56:57] offset:12096
	ds_store_b64 v214, v[58:59] offset:15232
	v_add_f64 v[56:57], v[138:139], v[142:143]
	v_add_f64 v[58:59], v[162:163], v[164:165]
	ds_store_b64 v208, v[56:57] offset:8960
	ds_store_b64 v233, v[58:59] offset:5824
	s_waitcnt lgkmcnt(0)
	s_barrier
	buffer_gl0_inv
	s_mov_b32 s0, exec_lo
	scratch_load_b32 v114, off, off offset:20 ; 4-byte Folded Reload
	s_and_b32 s0, s0, vcc_lo
	s_delay_alu instid0(SALU_CYCLE_1)
	s_mov_b32 exec_lo, s0
	s_cbranch_execz .LBB0_29
; %bb.28:
	scratch_load_b32 v56, off, off offset:60 ; 4-byte Folded Reload
	s_waitcnt vmcnt(1)
	v_dual_mov_b32 v95, 0 :: v_dual_lshlrev_b32 v122, 2, v114
	v_add_nc_u32_e32 v232, 0x2000, v233
	v_add_nc_u32_e32 v188, 0x1000, v233
	;; [unrolled: 1-line block ×4, first 2 shown]
	s_mov_b32 s2, 0x134454ff
	s_mov_b32 s3, 0xbfee6f0e
	;; [unrolled: 1-line block ×8, first 2 shown]
	s_waitcnt vmcnt(0)
	v_lshlrev_b32_e32 v94, 2, v56
	scratch_load_b32 v56, off, off          ; 4-byte Folded Reload
	v_dual_mov_b32 v65, v95 :: v_dual_lshlrev_b32 v64, 2, v228
	v_dual_mov_b32 v99, v95 :: v_dual_lshlrev_b32 v98, 2, v219
	v_lshlrev_b64 v[58:59], 4, v[94:95]
	v_dual_mov_b32 v119, v95 :: v_dual_lshlrev_b32 v94, 2, v217
	s_delay_alu instid0(VALU_DEP_4) | instskip(NEXT) | instid1(VALU_DEP_4)
	v_lshlrev_b64 v[64:65], 4, v[64:65]
	v_lshlrev_b64 v[106:107], 4, v[98:99]
	v_dual_mov_b32 v123, v95 :: v_dual_lshlrev_b32 v118, 2, v218
	v_add_co_u32 v100, vcc_lo, s4, v58
	v_add_co_ci_u32_e32 v101, vcc_lo, s5, v59, vcc_lo
	s_delay_alu instid0(VALU_DEP_3) | instskip(NEXT) | instid1(VALU_DEP_4)
	v_lshlrev_b64 v[118:119], 4, v[118:119]
	v_lshlrev_b64 v[122:123], 4, v[122:123]
	v_mov_b32_e32 v57, v95
	v_lshlrev_b64 v[94:95], 4, v[94:95]
	s_waitcnt vmcnt(0)
	v_lshlrev_b32_e32 v56, 2, v56
	s_delay_alu instid0(VALU_DEP_1) | instskip(NEXT) | instid1(VALU_DEP_1)
	v_lshlrev_b64 v[56:57], 4, v[56:57]
	v_add_co_u32 v66, vcc_lo, s4, v56
	s_delay_alu instid0(VALU_DEP_2) | instskip(SKIP_2) | instid1(VALU_DEP_4)
	v_add_co_ci_u32_e32 v67, vcc_lo, s5, v57, vcc_lo
	v_add_co_u32 v96, vcc_lo, 0x1840, v100
	v_add_co_ci_u32_e32 v97, vcc_lo, 0, v101, vcc_lo
	v_add_co_u32 v102, vcc_lo, 0x1840, v66
	s_delay_alu instid0(VALU_DEP_4)
	v_add_co_ci_u32_e32 v103, vcc_lo, 0, v67, vcc_lo
	s_clause 0x1
	global_load_b128 v[56:59], v[96:97], off offset:48
	global_load_b128 v[76:79], v[96:97], off offset:16
	v_add_co_u32 v104, vcc_lo, s4, v64
	global_load_b128 v[60:63], v[102:103], off offset:48
	v_add_co_ci_u32_e32 v105, vcc_lo, s5, v65, vcc_lo
	v_add_co_u32 v64, vcc_lo, 0x1000, v66
	v_add_co_ci_u32_e32 v65, vcc_lo, 0, v67, vcc_lo
	v_add_co_u32 v66, vcc_lo, 0x1000, v104
	s_delay_alu instid0(VALU_DEP_4)
	v_add_co_ci_u32_e32 v67, vcc_lo, 0, v105, vcc_lo
	v_add_co_u32 v100, vcc_lo, 0x1000, v100
	v_add_co_ci_u32_e32 v101, vcc_lo, 0, v101, vcc_lo
	s_clause 0x3
	global_load_b128 v[72:75], v[102:103], off offset:16
	global_load_b128 v[68:71], v[64:65], off offset:2112
	;; [unrolled: 1-line block ×4, first 2 shown]
	v_add_co_u32 v120, vcc_lo, 0x1840, v104
	v_add_co_ci_u32_e32 v121, vcc_lo, 0, v105, vcc_lo
	v_add_co_u32 v130, vcc_lo, s4, v106
	v_add_co_ci_u32_e32 v131, vcc_lo, s5, v107, vcc_lo
	global_load_b128 v[106:109], v[120:121], off offset:32
	v_add_co_u32 v126, vcc_lo, 0x1840, v130
	v_add_co_ci_u32_e32 v127, vcc_lo, 0, v131, vcc_lo
	global_load_b128 v[110:113], v[120:121], off offset:48
	v_add_co_u32 v134, vcc_lo, s4, v118
	global_load_b128 v[114:117], v[126:127], off offset:48
	v_add_co_ci_u32_e32 v135, vcc_lo, s5, v119, vcc_lo
	v_add_co_u32 v150, vcc_lo, s4, v122
	s_clause 0x1
	global_load_b128 v[102:105], v[102:103], off offset:32
	global_load_b128 v[118:121], v[120:121], off offset:16
	v_add_co_ci_u32_e32 v151, vcc_lo, s5, v123, vcc_lo
	s_clause 0x1
	global_load_b128 v[122:125], v[126:127], off offset:32
	global_load_b128 v[126:129], v[126:127], off offset:16
	v_add_co_u32 v176, vcc_lo, s4, v94
	v_add_co_ci_u32_e32 v177, vcc_lo, s5, v95, vcc_lo
	v_add_co_u32 v130, vcc_lo, 0x1000, v130
	v_add_co_ci_u32_e32 v131, vcc_lo, 0, v131, vcc_lo
	;; [unrolled: 2-line block ×4, first 2 shown]
	s_clause 0x5
	global_load_b128 v[94:97], v[96:97], off offset:32
	global_load_b128 v[130:133], v[130:131], off offset:2112
	;; [unrolled: 1-line block ×6, first 2 shown]
	v_add_co_u32 v162, vcc_lo, 0x1840, v150
	v_add_co_ci_u32_e32 v163, vcc_lo, 0, v151, vcc_lo
	v_add_co_u32 v154, vcc_lo, 0x1000, v150
	v_add_co_ci_u32_e32 v155, vcc_lo, 0, v151, vcc_lo
	;; [unrolled: 2-line block ×3, first 2 shown]
	s_clause 0x6
	global_load_b128 v[150:153], v[162:163], off offset:16
	global_load_b128 v[154:157], v[154:155], off offset:2112
	;; [unrolled: 1-line block ×7, first 2 shown]
	v_add_co_u32 v174, vcc_lo, 0x1000, v176
	v_add_co_ci_u32_e32 v175, vcc_lo, 0, v177, vcc_lo
	ds_load_2addr_b64 v[197:200], v232 offset0:40 offset1:96
	s_mov_b32 s5, 0xbfe2cf23
	s_mov_b32 s4, s6
	global_load_b128 v[182:185], v[174:175], off offset:2112
	v_add_nc_u32_e32 v174, 0x3800, v233
	ds_load_2addr_b64 v[193:196], v174 offset0:56 offset1:112
	s_waitcnt vmcnt(27) lgkmcnt(0)
	v_mul_f64 v[174:175], v[56:57], v[195:196]
	v_mul_f64 v[176:177], v[58:59], v[195:196]
	s_waitcnt vmcnt(26)
	v_mul_f64 v[209:210], v[76:77], v[199:200]
	v_mul_f64 v[211:212], v[78:79], v[199:200]
	s_waitcnt vmcnt(25)
	v_mul_f64 v[186:187], v[60:61], v[193:194]
	v_mul_f64 v[207:208], v[62:63], v[193:194]
	ds_load_2addr_b64 v[193:196], v188 offset0:104 offset1:160
	ds_load_2addr_b64 v[199:202], v192 offset0:88 offset1:144
	;; [unrolled: 1-line block ×3, first 2 shown]
	s_waitcnt vmcnt(24)
	v_mul_f64 v[213:214], v[72:73], v[197:198]
	v_mul_f64 v[215:216], v[74:75], v[197:198]
	s_waitcnt vmcnt(23) lgkmcnt(2)
	v_mul_f64 v[218:219], v[68:69], v[195:196]
	v_mul_f64 v[220:221], v[70:71], v[195:196]
	ds_load_2addr_b64 v[195:198], v191 offset0:72 offset1:128
	s_waitcnt vmcnt(22)
	v_mul_f64 v[191:192], v[64:65], v[193:194]
	v_mul_f64 v[193:194], v[66:67], v[193:194]
	s_waitcnt vmcnt(21) lgkmcnt(2)
	v_mul_f64 v[222:223], v[98:99], v[199:200]
	v_mul_f64 v[199:200], v[100:101], v[199:200]
	s_waitcnt vmcnt(20) lgkmcnt(1)
	v_mul_f64 v[226:227], v[106:107], v[203:204]
	v_mul_f64 v[203:204], v[108:109], v[203:204]
	v_fma_f64 v[174:175], v[54:55], v[58:59], v[174:175]
	v_fma_f64 v[176:177], v[54:55], v[56:57], -v[176:177]
	v_fma_f64 v[78:79], v[50:51], v[78:79], v[209:210]
	v_fma_f64 v[76:77], v[50:51], v[76:77], -v[211:212]
	;; [unrolled: 2-line block ×3, first 2 shown]
	ds_load_2addr_b64 v[52:55], v231 offset0:184 offset1:240
	ds_load_b64 v[211:212], v239
	v_dual_mov_b32 v239, v234 :: v_dual_add_nc_u32 v234, 0x3000, v233
	s_waitcnt vmcnt(19) lgkmcnt(2)
	v_mul_f64 v[228:229], v[110:111], v[197:198]
	v_mul_f64 v[197:198], v[112:113], v[197:198]
	s_waitcnt vmcnt(18)
	v_mul_f64 v[209:210], v[114:115], v[195:196]
	v_mul_f64 v[195:196], v[116:117], v[195:196]
	ds_load_2addr_b64 v[56:59], v190 offset0:104 offset1:160
	ds_load_2addr_b64 v[60:63], v230 offset0:8 offset1:64
	s_waitcnt vmcnt(17)
	v_mul_f64 v[224:225], v[102:103], v[205:206]
	v_mul_f64 v[205:206], v[104:105], v[205:206]
	v_fma_f64 v[74:75], v[48:49], v[74:75], v[213:214]
	v_fma_f64 v[72:73], v[48:49], v[72:73], -v[215:216]
	ds_load_2addr_b64 v[48:51], v189 offset0:120 offset1:176
	v_fma_f64 v[213:214], v[46:47], v[70:71], v[218:219]
	v_fma_f64 v[215:216], v[46:47], v[68:69], -v[220:221]
	s_waitcnt vmcnt(16) lgkmcnt(4)
	v_mul_f64 v[188:189], v[118:119], v[54:55]
	v_fma_f64 v[190:191], v[44:45], v[66:67], v[191:192]
	v_fma_f64 v[192:193], v[44:45], v[64:65], -v[193:194]
	ds_load_2addr_stride64_b64 v[44:47], v233 offset1:7
	ds_load_2addr_b64 v[64:67], v231 offset0:72 offset1:128
	v_mul_f64 v[218:219], v[120:121], v[54:55]
	s_waitcnt vmcnt(14)
	v_mul_f64 v[220:221], v[126:127], v[52:53]
	v_mul_f64 v[230:231], v[128:129], v[52:53]
	v_fma_f64 v[100:101], v[16:17], v[100:101], v[222:223]
	v_fma_f64 v[16:17], v[16:17], v[98:99], -v[199:200]
	ds_load_2addr_b64 v[52:55], v234 offset0:88 offset1:144
	ds_load_b64 v[98:99], v239
	ds_load_b64 v[199:200], v240
	v_fma_f64 v[108:109], v[40:41], v[108:109], v[226:227]
	v_fma_f64 v[40:41], v[40:41], v[106:107], -v[203:204]
	s_waitcnt lgkmcnt(6)
	v_mul_f64 v[203:204], v[122:123], v[62:63]
	s_waitcnt vmcnt(12) lgkmcnt(5)
	v_mul_f64 v[106:107], v[130:131], v[50:51]
	v_mul_f64 v[50:51], v[132:133], v[50:51]
	;; [unrolled: 1-line block ×3, first 2 shown]
	ds_load_2addr_b64 v[68:71], v232 offset0:152 offset1:208
	v_fma_f64 v[112:113], v[38:39], v[112:113], v[228:229]
	v_fma_f64 v[38:39], v[38:39], v[110:111], -v[197:198]
	v_fma_f64 v[116:117], v[36:37], v[116:117], v[209:210]
	s_waitcnt vmcnt(10) lgkmcnt(4)
	v_mul_f64 v[110:111], v[138:139], v[66:67]
	v_fma_f64 v[114:115], v[36:37], v[114:115], -v[195:196]
	s_waitcnt vmcnt(9)
	v_mul_f64 v[36:37], v[142:143], v[48:49]
	v_mul_f64 v[48:49], v[144:145], v[48:49]
	s_waitcnt vmcnt(8) lgkmcnt(3)
	v_mul_f64 v[196:197], v[146:147], v[54:55]
	v_mul_f64 v[54:55], v[148:149], v[54:55]
	;; [unrolled: 1-line block ×3, first 2 shown]
	v_fma_f64 v[104:105], v[42:43], v[104:105], v[224:225]
	v_fma_f64 v[42:43], v[42:43], v[102:103], -v[205:206]
	v_mul_f64 v[102:103], v[94:95], v[56:57]
	v_mul_f64 v[56:57], v[96:97], v[56:57]
	;; [unrolled: 1-line block ×4, first 2 shown]
	s_waitcnt vmcnt(7)
	v_mul_f64 v[205:206], v[150:151], v[64:65]
	v_mul_f64 v[64:65], v[152:153], v[64:65]
	v_fma_f64 v[120:121], v[34:35], v[120:121], v[188:189]
	s_waitcnt vmcnt(0) lgkmcnt(1)
	v_mul_f64 v[226:227], v[182:183], v[199:200]
	v_mul_f64 v[188:189], v[158:159], v[52:53]
	;; [unrolled: 1-line block ×3, first 2 shown]
	v_fma_f64 v[34:35], v[34:35], v[118:119], -v[218:219]
	v_mul_f64 v[118:119], v[154:155], v[46:47]
	v_mul_f64 v[46:47], v[156:157], v[46:47]
	v_fma_f64 v[128:129], v[32:33], v[128:129], v[220:221]
	v_fma_f64 v[32:33], v[32:33], v[126:127], -v[230:231]
	v_mul_f64 v[126:127], v[178:179], v[201:202]
	s_waitcnt lgkmcnt(0)
	v_mul_f64 v[218:219], v[170:171], v[68:69]
	v_mul_f64 v[220:221], v[166:167], v[58:59]
	v_add_f64 v[222:223], v[100:101], v[211:212]
	v_add_f64 v[224:225], v[90:91], v[16:17]
	v_fma_f64 v[106:107], v[30:31], v[132:133], v[106:107]
	v_fma_f64 v[124:125], v[26:27], v[124:125], v[203:204]
	v_fma_f64 v[30:31], v[30:31], v[130:131], -v[50:51]
	v_fma_f64 v[26:27], v[26:27], v[122:123], -v[62:63]
	v_mul_f64 v[209:210], v[162:163], v[70:71]
	v_mul_f64 v[70:71], v[164:165], v[70:71]
	v_mul_f64 v[58:59], v[168:169], v[58:59]
	v_mul_f64 v[201:202], v[180:181], v[201:202]
	v_mul_f64 v[68:69], v[172:173], v[68:69]
	v_fma_f64 v[50:51], v[6:7], v[140:141], v[110:111]
	v_mul_f64 v[198:199], v[184:185], v[199:200]
	v_fma_f64 v[36:37], v[28:29], v[144:145], v[36:37]
	v_fma_f64 v[28:29], v[28:29], v[142:143], -v[48:49]
	v_fma_f64 v[110:111], v[10:11], v[148:149], v[196:197]
	v_fma_f64 v[122:123], v[10:11], v[146:147], -v[54:55]
	v_fma_f64 v[48:49], v[6:7], v[138:139], -v[66:67]
	v_add_f64 v[6:7], v[213:214], v[98:99]
	v_add_f64 v[10:11], v[88:89], v[215:216]
	v_fma_f64 v[96:97], v[20:21], v[96:97], v[102:103]
	v_fma_f64 v[20:21], v[20:21], v[94:95], -v[56:57]
	v_fma_f64 v[62:63], v[24:25], v[136:137], v[194:195]
	v_fma_f64 v[130:131], v[24:25], v[134:135], -v[60:61]
	;; [unrolled: 2-line block ×3, first 2 shown]
	v_add_f64 v[4:5], v[100:101], v[174:175]
	v_fma_f64 v[138:139], v[92:93], v[184:185], v[226:227]
	v_add_f64 v[64:65], v[16:17], v[176:177]
	ds_load_b64 v[56:57], v238
	ds_load_b64 v[94:95], v237
	;; [unrolled: 1-line block ×4, first 2 shown]
	v_fma_f64 v[134:135], v[8:9], v[160:161], v[188:189]
	v_fma_f64 v[24:25], v[2:3], v[156:157], v[118:119]
	v_fma_f64 v[136:137], v[2:3], v[154:155], -v[46:47]
	v_fma_f64 v[152:153], v[8:9], v[158:159], -v[52:53]
	v_add_f64 v[8:9], v[78:79], -v[100:101]
	v_fma_f64 v[126:127], v[18:19], v[180:181], v[126:127]
	v_fma_f64 v[142:143], v[12:13], v[172:173], v[218:219]
	;; [unrolled: 1-line block ×3, first 2 shown]
	v_add_f64 v[2:3], v[78:79], v[222:223]
	v_add_f64 v[46:47], v[76:77], v[224:225]
	v_add_f64 v[156:157], v[215:216], -v[207:208]
	v_add_f64 v[160:161], v[72:73], -v[42:43]
	v_add_f64 v[172:173], v[215:216], v[207:208]
	v_add_f64 v[184:185], v[215:216], -v[72:73]
	v_fma_f64 v[118:119], v[14:15], v[164:165], v[209:210]
	v_fma_f64 v[154:155], v[14:15], v[162:163], -v[70:71]
	v_fma_f64 v[144:145], v[22:23], v[166:167], -v[58:59]
	;; [unrolled: 1-line block ×4, first 2 shown]
	v_add_f64 v[18:19], v[16:17], -v[176:177]
	v_add_f64 v[14:15], v[100:101], -v[78:79]
	;; [unrolled: 1-line block ×7, first 2 shown]
	v_add_f64 v[6:7], v[74:75], v[6:7]
	v_add_f64 v[10:11], v[72:73], v[10:11]
	v_add_f64 v[12:13], v[96:97], -v[174:175]
	v_add_f64 v[22:23], v[76:77], -v[20:21]
	v_add_f64 v[52:53], v[174:175], -v[96:97]
	v_add_f64 v[54:55], v[78:79], v[96:97]
	v_add_f64 v[60:61], v[20:21], -v[176:177]
	v_add_f64 v[66:67], v[78:79], -v[96:97]
	v_add_f64 v[70:71], v[176:177], -v[20:21]
	;; [unrolled: 4-line block ×3, first 2 shown]
	v_add_f64 v[188:189], v[207:208], -v[42:43]
	v_add_f64 v[204:205], v[190:191], -v[120:121]
	;; [unrolled: 1-line block ×3, first 2 shown]
	v_add_f64 v[226:227], v[86:87], v[192:193]
	v_fma_f64 v[232:233], v[4:5], -0.5, v[211:212]
	v_add_f64 v[168:169], v[126:127], v[142:143]
	v_add_f64 v[166:167], v[138:139], v[140:141]
	;; [unrolled: 1-line block ×4, first 2 shown]
	v_add_f64 v[96:97], v[72:73], -v[215:216]
	v_add_f64 v[72:73], v[72:73], v[42:43]
	s_waitcnt lgkmcnt(3)
	v_add_f64 v[215:216], v[190:191], v[56:57]
	v_fma_f64 v[92:93], v[92:93], v[182:183], -v[198:199]
	v_add_f64 v[158:159], v[213:214], v[186:187]
	v_add_f64 v[46:47], v[74:75], v[104:105]
	v_add_f64 v[74:75], v[74:75], -v[104:105]
	v_add_f64 v[182:183], v[213:214], -v[186:187]
	;; [unrolled: 1-line block ×5, first 2 shown]
	v_add_f64 v[200:201], v[190:191], v[112:113]
	v_add_f64 v[202:203], v[34:35], -v[40:41]
	v_add_f64 v[213:214], v[120:121], v[108:109]
	v_add_f64 v[218:219], v[34:35], -v[192:193]
	v_add_f64 v[222:223], v[192:193], v[38:39]
	v_add_f64 v[6:7], v[104:105], v[6:7]
	;; [unrolled: 1-line block ×3, first 2 shown]
	v_fma_f64 v[42:43], v[64:65], -0.5, v[90:91]
	v_add_f64 v[224:225], v[120:121], -v[108:109]
	v_add_f64 v[192:193], v[192:193], -v[34:35]
	;; [unrolled: 1-line block ×3, first 2 shown]
	v_add_f64 v[64:65], v[34:35], v[40:41]
	v_add_f64 v[104:105], v[128:129], -v[106:107]
	v_add_f64 v[12:13], v[8:9], v[12:13]
	v_add_f64 v[8:9], v[106:107], -v[128:129]
	;; [unrolled: 2-line block ×3, first 2 shown]
	v_fma_f64 v[54:55], v[54:55], -0.5, v[211:212]
	v_add_f64 v[211:212], v[128:129], v[124:125]
	v_add_f64 v[58:59], v[58:59], v[60:61]
	s_waitcnt lgkmcnt(2)
	v_add_f64 v[60:61], v[106:107], v[94:95]
	v_add_f64 v[70:71], v[16:17], v[70:71]
	v_fma_f64 v[76:77], v[76:77], -0.5, v[90:91]
	v_fma_f64 v[168:169], v[168:169], -0.5, v[44:45]
	;; [unrolled: 1-line block ×3, first 2 shown]
	v_add_f64 v[4:5], v[174:175], v[2:3]
	v_add_f64 v[2:3], v[20:21], v[176:177]
	v_add_f64 v[20:21], v[124:125], -v[116:117]
	v_add_f64 v[176:177], v[138:139], v[44:45]
	v_add_f64 v[44:45], v[106:107], v[116:117]
	;; [unrolled: 1-line block ×7, first 2 shown]
	v_fma_f64 v[164:165], v[22:23], s[2:3], v[232:233]
	v_add_f64 v[204:205], v[204:205], v[209:210]
	v_add_f64 v[220:221], v[40:41], -v[38:39]
	v_add_f64 v[174:175], v[30:31], -v[114:115]
	;; [unrolled: 1-line block ×5, first 2 shown]
	v_fma_f64 v[158:159], v[158:159], -0.5, v[98:99]
	v_add_f64 v[16:17], v[186:187], v[6:7]
	v_add_f64 v[14:15], v[10:11], v[207:208]
	v_fma_f64 v[6:7], v[66:67], s[12:13], v[42:43]
	v_fma_f64 v[186:187], v[22:23], s[12:13], v[232:233]
	;; [unrolled: 1-line block ×3, first 2 shown]
	s_waitcnt lgkmcnt(1)
	v_add_f64 v[208:209], v[36:37], v[102:103]
	v_fma_f64 v[46:47], v[46:47], -0.5, v[98:99]
	v_add_f64 v[98:99], v[32:33], v[26:27]
	v_add_f64 v[30:31], v[84:85], v[30:31]
	;; [unrolled: 1-line block ×3, first 2 shown]
	v_add_f64 v[170:171], v[50:51], -v[36:37]
	v_add_f64 v[184:185], v[184:185], v[188:189]
	v_add_f64 v[188:189], v[62:63], -v[110:111]
	v_fma_f64 v[172:173], v[172:173], -0.5, v[88:89]
	v_fma_f64 v[72:73], v[72:73], -0.5, v[88:89]
	v_add_f64 v[88:89], v[28:29], -v[122:123]
	v_add_f64 v[194:195], v[194:195], v[196:197]
	v_add_f64 v[196:197], v[36:37], v[110:111]
	v_add_f64 v[206:207], v[36:37], -v[50:51]
	v_fma_f64 v[200:201], v[200:201], -0.5, v[56:57]
	v_fma_f64 v[56:57], v[213:214], -0.5, v[56:57]
	v_add_f64 v[192:193], v[192:193], v[230:231]
	v_fma_f64 v[222:223], v[222:223], -0.5, v[86:87]
	v_fma_f64 v[64:65], v[64:65], -0.5, v[86:87]
	v_add_f64 v[86:87], v[50:51], v[62:63]
	v_add_f64 v[104:105], v[104:105], v[20:21]
	v_add_f64 v[230:231], v[48:49], -v[28:29]
	v_add_f64 v[20:21], v[108:109], v[120:121]
	v_add_f64 v[34:35], v[34:35], v[40:41]
	;; [unrolled: 1-line block ×4, first 2 shown]
	v_add_f64 v[232:233], v[50:51], -v[62:63]
	v_fma_f64 v[8:9], v[18:19], s[6:7], v[164:165]
	v_add_f64 v[164:165], v[36:37], -v[110:111]
	v_fma_f64 v[36:37], v[44:45], -0.5, v[94:95]
	v_fma_f64 v[94:95], v[211:212], -0.5, v[94:95]
	v_add_f64 v[210:211], v[28:29], -v[48:49]
	v_add_f64 v[60:61], v[128:129], v[60:61]
	v_add_f64 v[128:129], v[48:49], v[130:131]
	;; [unrolled: 1-line block ×3, first 2 shown]
	v_fma_f64 v[6:7], v[68:69], s[4:5], v[6:7]
	v_fma_f64 v[186:187], v[18:19], s[4:5], v[186:187]
	;; [unrolled: 1-line block ×3, first 2 shown]
	v_fma_f64 v[100:101], v[100:101], -0.5, v[84:85]
	v_add_f64 v[50:51], v[50:51], v[208:209]
	v_fma_f64 v[208:209], v[18:19], s[12:13], v[54:55]
	v_fma_f64 v[18:19], v[18:19], s[2:3], v[54:55]
	;; [unrolled: 1-line block ×4, first 2 shown]
	v_add_f64 v[190:191], v[190:191], -v[112:113]
	v_add_f64 v[90:91], v[26:27], -v[114:115]
	;; [unrolled: 1-line block ×3, first 2 shown]
	v_add_f64 v[213:214], v[218:219], v[220:221]
	v_add_f64 v[218:219], v[110:111], -v[62:63]
	v_add_f64 v[220:221], v[48:49], -v[130:131]
	v_fma_f64 v[84:85], v[98:99], -0.5, v[84:85]
	v_add_f64 v[30:31], v[32:33], v[30:31]
	v_add_f64 v[170:171], v[170:171], v[188:189]
	;; [unrolled: 1-line block ×3, first 2 shown]
	v_fma_f64 v[196:197], v[196:197], -0.5, v[102:103]
	v_add_f64 v[178:179], v[92:93], v[144:145]
	v_add_f64 v[180:181], v[146:147], v[148:149]
	v_fma_f64 v[86:87], v[86:87], -0.5, v[102:103]
	v_fma_f64 v[102:103], v[160:161], s[2:3], v[158:159]
	v_fma_f64 v[158:159], v[160:161], s[12:13], v[158:159]
	v_add_f64 v[44:45], v[112:113], v[20:21]
	v_add_f64 v[42:43], v[34:35], v[38:39]
	v_fma_f64 v[20:21], v[156:157], s[12:13], v[46:47]
	v_fma_f64 v[34:35], v[156:157], s[2:3], v[46:47]
	;; [unrolled: 1-line block ×5, first 2 shown]
	v_fma_f64 v[40:41], v[40:41], -0.5, v[82:83]
	v_fma_f64 v[172:173], v[202:203], s[12:13], v[200:201]
	v_add_f64 v[10:11], v[114:115], -v[26:27]
	v_add_f64 v[234:235], v[32:33], -v[26:27]
	v_fma_f64 v[82:83], v[128:129], -0.5, v[82:83]
	v_fma_f64 v[128:129], v[202:203], s[2:3], v[200:201]
	v_add_f64 v[250:251], v[136:137], -v[152:153]
	v_fma_f64 v[12:13], v[12:13], s[0:1], v[186:187]
	v_add_f64 v[186:187], v[48:49], v[28:29]
	v_fma_f64 v[28:29], v[198:199], s[12:13], v[56:57]
	v_fma_f64 v[48:49], v[198:199], s[2:3], v[56:57]
	v_add_f64 v[32:33], v[24:25], v[134:135]
	v_add_f64 v[76:77], v[136:137], v[152:153]
	v_fma_f64 v[54:55], v[66:67], s[4:5], v[54:55]
	v_fma_f64 v[66:67], v[66:67], s[6:7], v[68:69]
	;; [unrolled: 1-line block ×3, first 2 shown]
	v_add_f64 v[90:91], v[246:247], v[90:91]
	v_add_f64 v[112:113], v[150:151], v[154:155]
	v_fma_f64 v[56:57], v[224:225], s[12:13], v[222:223]
	v_add_f64 v[206:207], v[206:207], v[218:219]
	v_add_f64 v[218:219], v[62:63], v[50:51]
	v_fma_f64 v[62:63], v[22:23], s[6:7], v[208:209]
	v_add_f64 v[200:201], v[30:31], v[26:27]
	v_fma_f64 v[26:27], v[190:191], s[2:3], v[64:65]
	v_fma_f64 v[30:31], v[190:191], s[12:13], v[64:65]
	;; [unrolled: 1-line block ×9, first 2 shown]
	s_waitcnt lgkmcnt(0)
	v_fma_f64 v[188:189], v[188:189], -0.5, v[228:229]
	v_fma_f64 v[158:159], v[160:161], s[6:7], v[20:21]
	v_fma_f64 v[20:21], v[106:107], s[12:13], v[84:85]
	v_fma_f64 v[178:179], v[178:179], -0.5, v[0:1]
	v_fma_f64 v[180:181], v[180:181], -0.5, v[0:1]
	v_add_f64 v[0:1], v[0:1], v[92:93]
	v_fma_f64 v[6:7], v[58:59], s[0:1], v[6:7]
	v_fma_f64 v[172:173], v[198:199], s[4:5], v[172:173]
	v_add_f64 v[226:227], v[226:227], v[10:11]
	v_fma_f64 v[10:11], v[58:59], s[0:1], v[236:237]
	v_fma_f64 v[58:59], v[182:183], s[2:3], v[72:73]
	;; [unrolled: 1-line block ×4, first 2 shown]
	v_add_f64 v[124:125], v[124:125], v[60:61]
	v_fma_f64 v[60:61], v[224:225], s[2:3], v[222:223]
	v_fma_f64 v[198:199], v[202:203], s[6:7], v[28:29]
	;; [unrolled: 1-line block ×5, first 2 shown]
	v_add_f64 v[248:249], v[132:133], -v[24:25]
	v_fma_f64 v[50:51], v[234:235], s[2:3], v[36:37]
	v_fma_f64 v[28:29], v[106:107], s[4:5], v[68:69]
	;; [unrolled: 1-line block ×3, first 2 shown]
	v_add_f64 v[160:161], v[150:151], -v[154:155]
	v_fma_f64 v[38:39], v[182:183], s[4:5], v[38:39]
	v_fma_f64 v[84:85], v[220:221], s[2:3], v[196:197]
	;; [unrolled: 1-line block ×3, first 2 shown]
	v_fma_f64 v[32:33], v[32:33], -0.5, v[228:229]
	v_add_f64 v[196:197], v[24:25], -v[132:133]
	v_add_f64 v[208:209], v[134:135], -v[118:119]
	v_add_f64 v[222:223], v[24:25], v[228:229]
	v_fma_f64 v[228:229], v[190:191], s[4:5], v[56:57]
	v_add_f64 v[252:253], v[24:25], -v[134:135]
	v_fma_f64 v[76:77], v[76:77], -0.5, v[80:81]
	v_fma_f64 v[112:113], v[112:113], -0.5, v[80:81]
	v_add_f64 v[80:81], v[80:81], v[136:137]
	v_fma_f64 v[94:95], v[106:107], s[6:7], v[94:95]
	v_fma_f64 v[106:107], v[215:216], s[4:5], v[156:157]
	;; [unrolled: 1-line block ×3, first 2 shown]
	v_add_f64 v[108:109], v[130:131], -v[122:123]
	v_fma_f64 v[215:216], v[215:216], s[6:7], v[20:21]
	v_fma_f64 v[20:21], v[52:53], s[0:1], v[62:63]
	;; [unrolled: 1-line block ×3, first 2 shown]
	v_add_f64 v[0:1], v[146:147], v[0:1]
	v_add_f64 v[238:239], v[92:93], -v[144:145]
	v_fma_f64 v[56:57], v[194:195], s[0:1], v[172:173]
	v_add_f64 v[242:243], v[146:147], -v[148:149]
	v_fma_f64 v[244:245], v[234:235], s[6:7], v[18:19]
	v_fma_f64 v[58:59], v[74:75], s[4:5], v[58:59]
	;; [unrolled: 1-line block ×9, first 2 shown]
	v_add_f64 v[26:27], v[126:127], -v[142:143]
	v_fma_f64 v[60:61], v[232:233], s[12:13], v[40:41]
	v_fma_f64 v[64:65], v[232:233], s[2:3], v[40:41]
	;; [unrolled: 1-line block ×10, first 2 shown]
	v_add_f64 v[196:197], v[196:197], v[208:209]
	v_add_f64 v[246:247], v[122:123], -v[130:131]
	v_add_f64 v[98:99], v[118:119], -v[134:135]
	v_add_f64 v[130:131], v[186:187], v[130:131]
	v_add_f64 v[236:237], v[132:133], -v[118:119]
	v_fma_f64 v[102:103], v[252:253], s[2:3], v[112:113]
	v_fma_f64 v[224:225], v[224:225], s[6:7], v[30:31]
	v_add_f64 v[48:49], v[138:139], -v[140:141]
	v_fma_f64 v[172:173], v[226:227], s[0:1], v[106:107]
	v_fma_f64 v[106:107], v[252:253], s[12:13], v[112:113]
	v_add_f64 v[112:113], v[150:151], v[80:81]
	v_fma_f64 v[62:63], v[160:161], s[12:13], v[32:33]
	v_fma_f64 v[30:31], v[96:97], s[0:1], v[38:39]
	v_add_f64 v[96:97], v[136:137], -v[150:151]
	v_add_f64 v[0:1], v[0:1], v[148:149]
	v_add_f64 v[128:129], v[126:127], -v[138:139]
	v_add_f64 v[80:81], v[116:117], v[124:125]
	v_add_f64 v[108:109], v[230:231], v[108:109]
	v_fma_f64 v[18:19], v[70:71], s[0:1], v[54:55]
	v_fma_f64 v[156:157], v[184:185], s[0:1], v[58:59]
	v_add_f64 v[58:59], v[132:133], v[222:223]
	v_add_f64 v[132:133], v[142:143], -v[140:141]
	v_fma_f64 v[74:75], v[220:221], s[6:7], v[74:75]
	v_fma_f64 v[86:87], v[220:221], s[4:5], v[86:87]
	;; [unrolled: 1-line block ×4, first 2 shown]
	v_add_f64 v[78:79], v[150:151], -v[136:137]
	v_add_f64 v[100:101], v[152:153], -v[154:155]
	v_fma_f64 v[136:137], v[242:243], s[2:3], v[166:167]
	v_fma_f64 v[150:151], v[242:243], s[12:13], v[166:167]
	;; [unrolled: 1-line block ×10, first 2 shown]
	v_add_f64 v[90:91], v[154:155], -v[152:153]
	v_fma_f64 v[68:69], v[164:165], s[2:3], v[82:83]
	v_fma_f64 v[82:83], v[164:165], s[12:13], v[82:83]
	v_fma_f64 v[60:61], v[164:165], s[4:5], v[60:61]
	v_add_f64 v[164:165], v[248:249], v[98:99]
	v_add_f64 v[98:99], v[130:131], v[122:123]
	v_fma_f64 v[158:159], v[162:163], s[0:1], v[158:159]
	v_fma_f64 v[38:39], v[184:185], s[0:1], v[72:73]
	;; [unrolled: 1-line block ×4, first 2 shown]
	v_add_f64 v[154:155], v[112:113], v[154:155]
	v_fma_f64 v[204:205], v[104:105], s[0:1], v[240:241]
	v_fma_f64 v[72:73], v[104:105], s[0:1], v[174:175]
	v_add_f64 v[104:105], v[126:127], v[176:177]
	v_add_f64 v[122:123], v[0:1], v[144:145]
	v_fma_f64 v[162:163], v[238:239], s[12:13], v[168:169]
	v_add_f64 v[168:169], v[146:147], -v[92:93]
	v_add_f64 v[176:177], v[148:149], -v[144:145]
	v_add_f64 v[92:93], v[92:93], -v[146:147]
	v_add_f64 v[146:147], v[144:145], -v[148:149]
	v_fma_f64 v[190:191], v[48:49], s[12:13], v[180:181]
	v_fma_f64 v[180:181], v[48:49], s[2:3], v[180:181]
	v_add_f64 v[132:133], v[128:129], v[132:133]
	v_add_f64 v[126:127], v[138:139], -v[126:127]
	v_add_f64 v[138:139], v[140:141], -v[142:143]
	v_fma_f64 v[174:175], v[120:121], s[0:1], v[244:245]
	v_fma_f64 v[94:95], v[236:237], s[12:13], v[76:77]
	v_add_f64 v[148:149], v[96:97], v[100:101]
	v_fma_f64 v[128:129], v[238:239], s[6:7], v[136:137]
	v_fma_f64 v[136:137], v[238:239], s[4:5], v[150:151]
	v_fma_f64 v[150:151], v[242:243], s[4:5], v[166:167]
	v_fma_f64 v[112:113], v[196:197], s[0:1], v[28:29]
	v_mad_u64_u32 v[28:29], null, s8, v217, 0
	v_fma_f64 v[166:167], v[48:49], s[6:7], v[188:189]
	v_fma_f64 v[96:97], v[206:207], s[0:1], v[86:87]
	;; [unrolled: 1-line block ×6, first 2 shown]
	v_mov_b32_e32 v0, v29
	v_add_f64 v[120:121], v[210:211], v[246:247]
	v_fma_f64 v[124:125], v[232:233], s[6:7], v[82:83]
	v_fma_f64 v[68:69], v[232:233], s[4:5], v[68:69]
	v_add_f64 v[58:59], v[118:119], v[58:59]
	v_mad_u64_u32 v[48:49], null, s9, v217, v[0:1]
	scratch_load_b64 v[0:1], off, off offset:64 ; 8-byte Folded Reload
	v_fma_f64 v[76:77], v[236:237], s[2:3], v[76:77]
	v_fma_f64 v[62:63], v[250:251], s[4:5], v[62:63]
	v_add_nc_u32_e32 v49, 0x188, v217
	v_add_f64 v[142:143], v[142:143], v[104:105]
	v_add_f64 v[118:119], v[78:79], v[90:91]
	v_mov_b32_e32 v29, v48
	v_fma_f64 v[82:83], v[108:109], s[0:1], v[60:61]
	v_fma_f64 v[208:209], v[236:237], s[6:7], v[106:107]
	;; [unrolled: 1-line block ×3, first 2 shown]
	v_add_f64 v[146:147], v[92:93], v[146:147]
	v_lshlrev_b64 v[28:29], 4, v[28:29]
	v_fma_f64 v[186:187], v[250:251], s[6:7], v[220:221]
	v_fma_f64 v[50:51], v[213:214], s[0:1], v[228:229]
	v_add_f64 v[78:79], v[200:201], v[114:115]
	v_add_f64 v[126:127], v[126:127], v[138:139]
	v_fma_f64 v[138:139], v[242:243], s[6:7], v[162:163]
	v_add_f64 v[162:163], v[168:169], v[176:177]
	v_fma_f64 v[168:169], v[26:27], s[6:7], v[190:191]
	v_fma_f64 v[160:161], v[252:253], s[4:5], v[94:95]
	;; [unrolled: 1-line block ×8, first 2 shown]
	v_add_f64 v[100:101], v[110:111], v[218:219]
	v_fma_f64 v[64:65], v[226:227], s[0:1], v[215:216]
	v_fma_f64 v[182:183], v[192:193], s[0:1], v[254:255]
	;; [unrolled: 1-line block ×3, first 2 shown]
	v_add_nc_u32_e32 v74, 0x658, v217
	v_add_nc_u32_e32 v75, 0x70, v217
	v_fma_f64 v[94:95], v[120:121], s[0:1], v[124:125]
	v_fma_f64 v[90:91], v[120:121], s[0:1], v[68:69]
	v_add_f64 v[120:121], v[134:135], v[58:59]
	v_mad_u64_u32 v[58:59], null, s8, v49, 0
	v_fma_f64 v[76:77], v[252:253], s[6:7], v[76:77]
	v_fma_f64 v[108:109], v[164:165], s[0:1], v[62:63]
	v_add_f64 v[124:125], v[140:141], v[142:143]
	s_delay_alu instid0(VALU_DEP_4) | instskip(SKIP_2) | instid1(VALU_DEP_3)
	v_dual_mov_b32 v48, v59 :: v_dual_add_nc_u32 v59, 0x310, v217
	v_fma_f64 v[114:115], v[148:149], s[0:1], v[208:209]
	v_fma_f64 v[110:111], v[148:149], s[0:1], v[198:199]
	v_mad_u64_u32 v[62:63], null, s9, v49, v[48:49]
	s_delay_alu instid0(VALU_DEP_4)
	v_mad_u64_u32 v[60:61], null, s8, v59, 0
	v_fma_f64 v[140:141], v[126:127], s[0:1], v[150:151]
	v_fma_f64 v[136:137], v[126:127], s[0:1], v[138:139]
	;; [unrolled: 1-line block ×4, first 2 shown]
	v_add_nc_u32_e32 v63, 0x498, v217
	v_fma_f64 v[126:127], v[162:163], s[0:1], v[46:47]
	v_mov_b32_e32 v48, v61
	v_fma_f64 v[134:135], v[146:147], s[0:1], v[26:27]
	v_fma_f64 v[102:103], v[118:119], s[0:1], v[160:161]
	;; [unrolled: 1-line block ×4, first 2 shown]
	v_mad_u64_u32 v[68:69], null, s9, v59, v[48:49]
	v_mad_u64_u32 v[48:49], null, s8, v63, 0
	v_mov_b32_e32 v59, v62
	v_fma_f64 v[84:85], v[170:171], s[0:1], v[84:85]
	s_delay_alu instid0(VALU_DEP_4) | instskip(NEXT) | instid1(VALU_DEP_3)
	v_mov_b32_e32 v61, v68
	v_lshlrev_b64 v[26:27], 4, v[58:59]
	s_delay_alu instid0(VALU_DEP_2)
	v_lshlrev_b64 v[58:59], 4, v[60:61]
	v_fma_f64 v[106:107], v[118:119], s[0:1], v[76:77]
	v_add_f64 v[118:119], v[154:155], v[152:153]
	s_waitcnt vmcnt(0)
	v_add_co_u32 v0, vcc_lo, s10, v0
	v_add_co_ci_u32_e32 v1, vcc_lo, s11, v1, vcc_lo
	s_delay_alu instid0(VALU_DEP_2) | instskip(NEXT) | instid1(VALU_DEP_2)
	v_add_co_u32 v28, vcc_lo, v0, v28
	v_add_co_ci_u32_e32 v29, vcc_lo, v1, v29, vcc_lo
	v_add_co_u32 v26, vcc_lo, v0, v26
	v_add_co_ci_u32_e32 v27, vcc_lo, v1, v27, vcc_lo
	global_store_b128 v[28:29], v[122:125], off
	v_dual_mov_b32 v28, v49 :: v_dual_add_nc_u32 v29, 0x620, v217
	v_add_co_u32 v58, vcc_lo, v0, v58
	v_add_co_ci_u32_e32 v59, vcc_lo, v1, v59, vcc_lo
	s_delay_alu instid0(VALU_DEP_3) | instskip(NEXT) | instid1(VALU_DEP_4)
	v_mad_u64_u32 v[46:47], null, s8, v29, 0
	v_mad_u64_u32 v[60:61], null, s9, v63, v[28:29]
	s_clause 0x1
	global_store_b128 v[26:27], v[138:141], off
	global_store_b128 v[58:59], v[130:133], off
	v_or_b32_e32 v63, 0x1c0, v217
	v_dual_mov_b32 v28, v47 :: v_dual_add_nc_u32 v47, 56, v217
	v_mov_b32_e32 v49, v60
	s_delay_alu instid0(VALU_DEP_2) | instskip(NEXT) | instid1(VALU_DEP_3)
	v_mad_u64_u32 v[68:69], null, s9, v29, v[28:29]
	v_mad_u64_u32 v[61:62], null, s8, v47, 0
	s_delay_alu instid0(VALU_DEP_3) | instskip(NEXT) | instid1(VALU_DEP_2)
	v_lshlrev_b64 v[26:27], 4, v[48:49]
	v_dual_mov_b32 v28, v62 :: v_dual_add_nc_u32 v69, 0x348, v217
	s_delay_alu instid0(VALU_DEP_2) | instskip(NEXT) | instid1(VALU_DEP_3)
	v_add_co_u32 v26, vcc_lo, v0, v26
	v_add_co_ci_u32_e32 v27, vcc_lo, v1, v27, vcc_lo
	s_delay_alu instid0(VALU_DEP_3) | instskip(SKIP_2) | instid1(VALU_DEP_3)
	v_mad_u64_u32 v[48:49], null, s9, v47, v[28:29]
	v_mad_u64_u32 v[28:29], null, s8, v63, 0
	v_dual_mov_b32 v47, v68 :: v_dual_add_nc_u32 v68, 0x4d0, v217
	v_mov_b32_e32 v62, v48
	v_mad_u64_u32 v[48:49], null, s8, v69, 0
	s_delay_alu instid0(VALU_DEP_3) | instskip(NEXT) | instid1(VALU_DEP_3)
	v_lshlrev_b64 v[46:47], 4, v[46:47]
	v_lshlrev_b64 v[58:59], 4, v[61:62]
	v_mad_u64_u32 v[60:61], null, s9, v63, v[29:30]
	s_delay_alu instid0(VALU_DEP_4) | instskip(NEXT) | instid1(VALU_DEP_4)
	v_mov_b32_e32 v29, v49
	v_add_co_u32 v46, vcc_lo, v0, v46
	v_add_co_ci_u32_e32 v47, vcc_lo, v1, v47, vcc_lo
	s_delay_alu instid0(VALU_DEP_3)
	v_mad_u64_u32 v[61:62], null, s9, v69, v[29:30]
	v_mad_u64_u32 v[62:63], null, s8, v68, 0
	v_add_co_u32 v58, vcc_lo, v0, v58
	v_mov_b32_e32 v29, v60
	v_add_co_ci_u32_e32 v59, vcc_lo, v1, v59, vcc_lo
	s_clause 0x2
	global_store_b128 v[26:27], v[126:129], off
	global_store_b128 v[46:47], v[134:137], off
	;; [unrolled: 1-line block ×3, first 2 shown]
	v_mad_u64_u32 v[46:47], null, s8, v74, 0
	v_lshlrev_b64 v[26:27], 4, v[28:29]
	v_dual_mov_b32 v49, v61 :: v_dual_mov_b32 v28, v63
	s_delay_alu instid0(VALU_DEP_1) | instskip(NEXT) | instid1(VALU_DEP_2)
	v_lshlrev_b64 v[48:49], 4, v[48:49]
	v_mad_u64_u32 v[58:59], null, s9, v68, v[28:29]
	v_mov_b32_e32 v28, v47
	v_mad_u64_u32 v[59:60], null, s8, v75, 0
	v_add_co_u32 v26, vcc_lo, v0, v26
	v_add_co_ci_u32_e32 v27, vcc_lo, v1, v27, vcc_lo
	v_dual_mov_b32 v63, v58 :: v_dual_add_nc_u32 v58, 0x1f8, v217
	v_add_co_u32 v47, vcc_lo, v0, v48
	v_mad_u64_u32 v[68:69], null, s9, v74, v[28:29]
	s_delay_alu instid0(VALU_DEP_3)
	v_mad_u64_u32 v[28:29], null, s8, v58, 0
	v_add_co_ci_u32_e32 v48, vcc_lo, v1, v49, vcc_lo
	v_mov_b32_e32 v49, v60
	s_clause 0x1
	global_store_b128 v[26:27], v[114:117], off
	global_store_b128 v[47:48], v[106:109], off
	v_lshlrev_b64 v[26:27], 4, v[62:63]
	v_dual_mov_b32 v47, v68 :: v_dual_add_nc_u32 v106, 0x690, v217
	v_mad_u64_u32 v[60:61], null, s9, v75, v[49:50]
	v_mad_u64_u32 v[48:49], null, s9, v58, v[29:30]
	v_or_b32_e32 v49, 0x380, v217
	s_delay_alu instid0(VALU_DEP_4) | instskip(SKIP_2) | instid1(VALU_DEP_4)
	v_mad_u64_u32 v[74:75], null, s8, v106, 0
	v_lshlrev_b64 v[46:47], 4, v[46:47]
	v_lshlrev_b64 v[58:59], 4, v[59:60]
	v_mad_u64_u32 v[61:62], null, s8, v49, 0
	v_dual_mov_b32 v29, v48 :: v_dual_add_nc_u32 v60, 0x508, v217
	v_add_co_u32 v26, vcc_lo, v0, v26
	v_add_co_ci_u32_e32 v27, vcc_lo, v1, v27, vcc_lo
	s_delay_alu instid0(VALU_DEP_4) | instskip(NEXT) | instid1(VALU_DEP_4)
	v_mov_b32_e32 v48, v62
	v_mad_u64_u32 v[68:69], null, s8, v60, 0
	v_add_co_u32 v46, vcc_lo, v0, v46
	s_delay_alu instid0(VALU_DEP_3)
	v_mad_u64_u32 v[62:63], null, s9, v49, v[48:49]
	v_mov_b32_e32 v49, v75
	v_lshlrev_b64 v[28:29], 4, v[28:29]
	v_mov_b32_e32 v48, v69
	v_add_co_ci_u32_e32 v47, vcc_lo, v1, v47, vcc_lo
	v_add_co_u32 v58, vcc_lo, v0, v58
	s_delay_alu instid0(VALU_DEP_3)
	v_mad_u64_u32 v[75:76], null, s9, v60, v[48:49]
	v_mad_u64_u32 v[76:77], null, s9, v106, v[49:50]
	v_add_co_ci_u32_e32 v59, vcc_lo, v1, v59, vcc_lo
	v_add_co_u32 v28, vcc_lo, v0, v28
	v_add_co_ci_u32_e32 v29, vcc_lo, v1, v29, vcc_lo
	v_mov_b32_e32 v69, v75
	s_clause 0x3
	global_store_b128 v[26:27], v[102:105], off
	global_store_b128 v[46:47], v[110:113], off
	;; [unrolled: 1-line block ×4, first 2 shown]
	v_lshlrev_b64 v[26:27], 4, v[61:62]
	v_dual_mov_b32 v75, v76 :: v_dual_add_nc_u32 v62, 0xa8, v217
	v_lshlrev_b64 v[46:47], 4, v[68:69]
	v_add_nc_u32_e32 v68, 0x3b8, v217
	s_delay_alu instid0(VALU_DEP_4) | instskip(NEXT) | instid1(VALU_DEP_4)
	v_add_co_u32 v26, vcc_lo, v0, v26
	v_lshlrev_b64 v[48:49], 4, v[74:75]
	v_add_co_ci_u32_e32 v27, vcc_lo, v1, v27, vcc_lo
	v_add_co_u32 v46, vcc_lo, v0, v46
	v_add_co_ci_u32_e32 v47, vcc_lo, v1, v47, vcc_lo
	s_delay_alu instid0(VALU_DEP_4)
	v_add_co_u32 v48, vcc_lo, v0, v48
	v_or_b32_e32 v74, 0x540, v217
	v_add_co_ci_u32_e32 v49, vcc_lo, v1, v49, vcc_lo
	s_clause 0x2
	global_store_b128 v[26:27], v[86:89], off
	global_store_b128 v[46:47], v[82:85], off
	;; [unrolled: 1-line block ×3, first 2 shown]
	v_mad_u64_u32 v[46:47], null, s8, v74, 0
	v_add_nc_u32_e32 v63, 0x230, v217
	v_mad_u64_u32 v[28:29], null, s8, v62, 0
	v_add_nc_u32_e32 v75, 0xe0, v217
	s_delay_alu instid0(VALU_DEP_3) | instskip(NEXT) | instid1(VALU_DEP_3)
	v_mad_u64_u32 v[58:59], null, s8, v63, 0
	v_mad_u64_u32 v[60:61], null, s9, v62, v[29:30]
	s_delay_alu instid0(VALU_DEP_2) | instskip(NEXT) | instid1(VALU_DEP_1)
	v_mov_b32_e32 v29, v59
	v_mad_u64_u32 v[61:62], null, s9, v63, v[29:30]
	v_mad_u64_u32 v[62:63], null, s8, v68, 0
	s_delay_alu instid0(VALU_DEP_4) | instskip(NEXT) | instid1(VALU_DEP_3)
	v_mov_b32_e32 v29, v60
	v_mov_b32_e32 v59, v61
	s_delay_alu instid0(VALU_DEP_2) | instskip(NEXT) | instid1(VALU_DEP_4)
	v_lshlrev_b64 v[26:27], 4, v[28:29]
	v_dual_mov_b32 v28, v63 :: v_dual_add_nc_u32 v29, 0x6c8, v217
	v_mul_hi_u32 v61, 0x5397829d, v75
	s_delay_alu instid0(VALU_DEP_4) | instskip(NEXT) | instid1(VALU_DEP_4)
	v_lshlrev_b64 v[48:49], 4, v[58:59]
	v_add_co_u32 v26, vcc_lo, v0, v26
	s_delay_alu instid0(VALU_DEP_4)
	v_mad_u64_u32 v[58:59], null, s9, v68, v[28:29]
	v_add_co_ci_u32_e32 v27, vcc_lo, v1, v27, vcc_lo
	v_mad_u64_u32 v[59:60], null, s8, v29, 0
	v_mov_b32_e32 v28, v47
	v_add_co_u32 v47, vcc_lo, v0, v48
	v_mov_b32_e32 v63, v58
	v_add_co_ci_u32_e32 v48, vcc_lo, v1, v49, vcc_lo
	v_lshrrev_b32_e32 v49, 7, v61
	v_mad_u64_u32 v[68:69], null, s9, v74, v[28:29]
	s_clause 0x1
	global_store_b128 v[26:27], v[78:81], off
	global_store_b128 v[47:48], v[64:67], off
	v_lshlrev_b64 v[27:28], 4, v[62:63]
	v_mov_b32_e32 v26, v60
	v_mad_u32_u24 v64, 0x620, v49, v75
	v_mov_b32_e32 v47, v68
	s_delay_alu instid0(VALU_DEP_3) | instskip(NEXT) | instid1(VALU_DEP_3)
	v_mad_u64_u32 v[48:49], null, s9, v29, v[26:27]
	v_mad_u64_u32 v[61:62], null, s8, v64, 0
	v_add_nc_u32_e32 v65, 0x188, v64
	v_add_co_u32 v26, vcc_lo, v0, v27
	v_add_co_ci_u32_e32 v27, vcc_lo, v1, v28, vcc_lo
	v_lshlrev_b64 v[28:29], 4, v[46:47]
	v_mov_b32_e32 v60, v48
	v_mad_u64_u32 v[47:48], null, s8, v65, 0
	v_mov_b32_e32 v46, v62
	s_delay_alu instid0(VALU_DEP_3) | instskip(SKIP_2) | instid1(VALU_DEP_4)
	v_lshlrev_b64 v[58:59], 4, v[59:60]
	v_add_co_u32 v28, vcc_lo, v0, v28
	v_add_co_ci_u32_e32 v29, vcc_lo, v1, v29, vcc_lo
	v_mad_u64_u32 v[62:63], null, s9, v64, v[46:47]
	v_dual_mov_b32 v46, v48 :: v_dual_add_nc_u32 v63, 0x310, v64
	v_add_co_u32 v48, vcc_lo, v0, v58
	v_add_co_ci_u32_e32 v49, vcc_lo, v1, v59, vcc_lo
	s_delay_alu instid0(VALU_DEP_3) | instskip(NEXT) | instid1(VALU_DEP_4)
	v_mad_u64_u32 v[58:59], null, s9, v65, v[46:47]
	v_mad_u64_u32 v[59:60], null, s8, v63, 0
	s_clause 0x2
	global_store_b128 v[26:27], v[70:73], off
	global_store_b128 v[28:29], v[202:205], off
	global_store_b128 v[48:49], v[172:175], off
	v_add_nc_u32_e32 v29, 0x498, v64
	v_lshlrev_b64 v[26:27], 4, v[61:62]
	v_mov_b32_e32 v48, v58
	v_add_nc_u32_e32 v58, 0x620, v64
	v_mov_b32_e32 v28, v60
	v_mad_u64_u32 v[61:62], null, s8, v29, 0
	s_delay_alu instid0(VALU_DEP_4) | instskip(SKIP_1) | instid1(VALU_DEP_4)
	v_lshlrev_b64 v[46:47], 4, v[47:48]
	v_add_co_u32 v26, vcc_lo, v0, v26
	v_mad_u64_u32 v[48:49], null, s9, v63, v[28:29]
	v_mad_u64_u32 v[63:64], null, s8, v58, 0
	v_mov_b32_e32 v28, v62
	v_add_co_ci_u32_e32 v27, vcc_lo, v1, v27, vcc_lo
	v_add_co_u32 v46, vcc_lo, v0, v46
	v_mov_b32_e32 v60, v48
	s_delay_alu instid0(VALU_DEP_4)
	v_mad_u64_u32 v[48:49], null, s9, v29, v[28:29]
	v_dual_mov_b32 v28, v64 :: v_dual_add_nc_u32 v49, 0x118, v217
	v_add_co_ci_u32_e32 v47, vcc_lo, v1, v47, vcc_lo
	s_clause 0x1
	global_store_b128 v[26:27], v[42:45], off
	global_store_b128 v[46:47], v[192:195], off
	v_mov_b32_e32 v62, v48
	v_mad_u64_u32 v[42:43], null, s9, v58, v[28:29]
	v_mad_u64_u32 v[28:29], null, s8, v49, 0
	v_lshlrev_b64 v[26:27], 4, v[59:60]
	s_delay_alu instid0(VALU_DEP_4) | instskip(NEXT) | instid1(VALU_DEP_4)
	v_lshlrev_b64 v[43:44], 4, v[61:62]
	v_mov_b32_e32 v64, v42
	s_delay_alu instid0(VALU_DEP_4)
	v_mad_u64_u32 v[58:59], null, s9, v49, v[29:30]
	v_add_nc_u32_e32 v49, 0x5b0, v217
	v_add_nc_u32_e32 v60, 0x2a0, v217
	v_add_co_u32 v26, vcc_lo, v0, v26
	v_add_co_ci_u32_e32 v27, vcc_lo, v1, v27, vcc_lo
	v_mov_b32_e32 v29, v58
	s_delay_alu instid0(VALU_DEP_4)
	v_mad_u64_u32 v[45:46], null, s8, v60, 0
	v_add_co_u32 v42, vcc_lo, v0, v43
	v_add_co_ci_u32_e32 v43, vcc_lo, v1, v44, vcc_lo
	v_lshlrev_b64 v[47:48], 4, v[63:64]
	s_clause 0x1
	global_store_b128 v[26:27], v[54:57], off
	global_store_b128 v[42:43], v[50:53], off
	v_mov_b32_e32 v26, v46
	v_add_nc_u32_e32 v50, 0x738, v217
	v_add_co_u32 v42, vcc_lo, v0, v47
	v_add_co_ci_u32_e32 v43, vcc_lo, v1, v48, vcc_lo
	s_delay_alu instid0(VALU_DEP_4)
	v_mad_u64_u32 v[46:47], null, s9, v60, v[26:27]
	v_add_nc_u32_e32 v48, 0x428, v217
	v_lshlrev_b64 v[26:27], 4, v[28:29]
	global_store_b128 v[42:43], v[182:185], off
	v_mad_u64_u32 v[42:43], null, s8, v49, 0
	v_mad_u64_u32 v[28:29], null, s8, v48, 0
	v_lshlrev_b64 v[44:45], 4, v[45:46]
	v_add_co_u32 v26, vcc_lo, v0, v26
	v_add_co_ci_u32_e32 v27, vcc_lo, v1, v27, vcc_lo
	s_delay_alu instid0(VALU_DEP_4) | instskip(NEXT) | instid1(VALU_DEP_4)
	v_mad_u64_u32 v[46:47], null, s9, v48, v[29:30]
	v_mad_u64_u32 v[47:48], null, s9, v49, v[43:44]
	;; [unrolled: 1-line block ×3, first 2 shown]
	v_add_co_u32 v44, vcc_lo, v0, v44
	s_delay_alu instid0(VALU_DEP_4)
	v_mov_b32_e32 v29, v46
	v_add_co_ci_u32_e32 v45, vcc_lo, v1, v45, vcc_lo
	v_mov_b32_e32 v43, v47
	scratch_load_b32 v47, off, off offset:88 ; 4-byte Folded Reload
	global_store_b128 v[26:27], v[14:17], off
	v_lshlrev_b64 v[15:16], 4, v[28:29]
	global_store_b128 v[44:45], v[38:41], off
	v_lshlrev_b64 v[26:27], 4, v[42:43]
	s_waitcnt vmcnt(0)
	v_mul_hi_u32 v46, 0x5397829d, v47
	s_delay_alu instid0(VALU_DEP_1) | instskip(NEXT) | instid1(VALU_DEP_1)
	v_lshrrev_b32_e32 v17, 7, v46
	v_mad_u32_u24 v38, 0x620, v17, v47
	v_mov_b32_e32 v14, v49
	s_delay_alu instid0(VALU_DEP_1)
	v_mad_u64_u32 v[28:29], null, s9, v50, v[14:15]
	v_add_co_u32 v14, vcc_lo, v0, v15
	v_add_co_ci_u32_e32 v15, vcc_lo, v1, v16, vcc_lo
	v_add_co_u32 v16, vcc_lo, v0, v26
	v_add_co_ci_u32_e32 v17, vcc_lo, v1, v27, vcc_lo
	global_store_b128 v[14:15], v[34:37], off
	v_add_nc_u32_e32 v37, 0x498, v38
	v_dual_mov_b32 v49, v28 :: v_dual_add_nc_u32 v36, 0x310, v38
	v_mad_u64_u32 v[26:27], null, s8, v38, 0
	global_store_b128 v[16:17], v[30:33], off
	v_mad_u64_u32 v[28:29], null, s8, v36, 0
	v_lshlrev_b64 v[14:15], 4, v[48:49]
	s_delay_alu instid0(VALU_DEP_2) | instskip(SKIP_1) | instid1(VALU_DEP_3)
	v_mad_u64_u32 v[30:31], null, s9, v38, v[27:28]
	v_add_nc_u32_e32 v34, 0x188, v38
	v_add_co_u32 v14, vcc_lo, v0, v14
	s_delay_alu instid0(VALU_DEP_4) | instskip(NEXT) | instid1(VALU_DEP_4)
	v_add_co_ci_u32_e32 v15, vcc_lo, v1, v15, vcc_lo
	v_mov_b32_e32 v27, v30
	s_delay_alu instid0(VALU_DEP_4)
	v_mad_u64_u32 v[16:17], null, s8, v34, 0
	global_store_b128 v[14:15], v[156:159], off
	v_lshlrev_b64 v[26:27], 4, v[26:27]
	v_mad_u64_u32 v[31:32], null, s9, v34, v[17:18]
	v_mov_b32_e32 v17, v29
	v_mad_u64_u32 v[32:33], null, s8, v37, 0
	s_delay_alu instid0(VALU_DEP_4) | instskip(NEXT) | instid1(VALU_DEP_3)
	v_add_co_u32 v26, vcc_lo, v0, v26
	v_mad_u64_u32 v[34:35], null, s9, v36, v[17:18]
	v_dual_mov_b32 v17, v31 :: v_dual_add_nc_u32 v38, 0x620, v38
	s_delay_alu instid0(VALU_DEP_4) | instskip(SKIP_1) | instid1(VALU_DEP_4)
	v_mov_b32_e32 v14, v33
	v_add_co_ci_u32_e32 v27, vcc_lo, v1, v27, vcc_lo
	v_mov_b32_e32 v29, v34
	s_delay_alu instid0(VALU_DEP_4) | instskip(NEXT) | instid1(VALU_DEP_4)
	v_mad_u64_u32 v[35:36], null, s8, v38, 0
	v_mad_u64_u32 v[30:31], null, s9, v37, v[14:15]
	v_lshlrev_b64 v[15:16], 4, v[16:17]
	s_delay_alu instid0(VALU_DEP_4) | instskip(NEXT) | instid1(VALU_DEP_3)
	v_lshlrev_b64 v[28:29], 4, v[28:29]
	v_dual_mov_b32 v14, v36 :: v_dual_mov_b32 v33, v30
	s_delay_alu instid0(VALU_DEP_1) | instskip(SKIP_2) | instid1(VALU_DEP_4)
	v_mad_u64_u32 v[36:37], null, s9, v38, v[14:15]
	v_add_co_u32 v14, vcc_lo, v0, v15
	v_add_co_ci_u32_e32 v15, vcc_lo, v1, v16, vcc_lo
	v_lshlrev_b64 v[16:17], 4, v[32:33]
	v_add_co_u32 v28, vcc_lo, v0, v28
	v_lshlrev_b64 v[30:31], 4, v[35:36]
	v_add_co_ci_u32_e32 v29, vcc_lo, v1, v29, vcc_lo
	s_delay_alu instid0(VALU_DEP_4) | instskip(SKIP_1) | instid1(VALU_DEP_4)
	v_add_co_u32 v16, vcc_lo, v0, v16
	v_add_co_ci_u32_e32 v17, vcc_lo, v1, v17, vcc_lo
	v_add_co_u32 v0, vcc_lo, v0, v30
	v_add_co_ci_u32_e32 v1, vcc_lo, v1, v31, vcc_lo
	s_clause 0x4
	global_store_b128 v[26:27], v[2:5], off
	global_store_b128 v[14:15], v[22:25], off
	;; [unrolled: 1-line block ×5, first 2 shown]
.LBB0_29:
	s_nop 0
	s_sendmsg sendmsg(MSG_DEALLOC_VGPRS)
	s_endpgm
	.section	.rodata,"a",@progbits
	.p2align	6, 0x0
	.amdhsa_kernel fft_rtc_fwd_len1960_factors_4_7_2_7_5_wgs_56_tpt_56_halfLds_dp_ip_CI_sbrr_dirReg
		.amdhsa_group_segment_fixed_size 0
		.amdhsa_private_segment_fixed_size 96
		.amdhsa_kernarg_size 88
		.amdhsa_user_sgpr_count 15
		.amdhsa_user_sgpr_dispatch_ptr 0
		.amdhsa_user_sgpr_queue_ptr 0
		.amdhsa_user_sgpr_kernarg_segment_ptr 1
		.amdhsa_user_sgpr_dispatch_id 0
		.amdhsa_user_sgpr_private_segment_size 0
		.amdhsa_wavefront_size32 1
		.amdhsa_uses_dynamic_stack 0
		.amdhsa_enable_private_segment 1
		.amdhsa_system_sgpr_workgroup_id_x 1
		.amdhsa_system_sgpr_workgroup_id_y 0
		.amdhsa_system_sgpr_workgroup_id_z 0
		.amdhsa_system_sgpr_workgroup_info 0
		.amdhsa_system_vgpr_workitem_id 0
		.amdhsa_next_free_vgpr 256
		.amdhsa_next_free_sgpr 28
		.amdhsa_reserve_vcc 1
		.amdhsa_float_round_mode_32 0
		.amdhsa_float_round_mode_16_64 0
		.amdhsa_float_denorm_mode_32 3
		.amdhsa_float_denorm_mode_16_64 3
		.amdhsa_dx10_clamp 1
		.amdhsa_ieee_mode 1
		.amdhsa_fp16_overflow 0
		.amdhsa_workgroup_processor_mode 1
		.amdhsa_memory_ordered 1
		.amdhsa_forward_progress 0
		.amdhsa_shared_vgpr_count 0
		.amdhsa_exception_fp_ieee_invalid_op 0
		.amdhsa_exception_fp_denorm_src 0
		.amdhsa_exception_fp_ieee_div_zero 0
		.amdhsa_exception_fp_ieee_overflow 0
		.amdhsa_exception_fp_ieee_underflow 0
		.amdhsa_exception_fp_ieee_inexact 0
		.amdhsa_exception_int_div_zero 0
	.end_amdhsa_kernel
	.text
.Lfunc_end0:
	.size	fft_rtc_fwd_len1960_factors_4_7_2_7_5_wgs_56_tpt_56_halfLds_dp_ip_CI_sbrr_dirReg, .Lfunc_end0-fft_rtc_fwd_len1960_factors_4_7_2_7_5_wgs_56_tpt_56_halfLds_dp_ip_CI_sbrr_dirReg
                                        ; -- End function
	.section	.AMDGPU.csdata,"",@progbits
; Kernel info:
; codeLenInByte = 29416
; NumSgprs: 30
; NumVgprs: 256
; ScratchSize: 96
; MemoryBound: 1
; FloatMode: 240
; IeeeMode: 1
; LDSByteSize: 0 bytes/workgroup (compile time only)
; SGPRBlocks: 3
; VGPRBlocks: 31
; NumSGPRsForWavesPerEU: 30
; NumVGPRsForWavesPerEU: 256
; Occupancy: 5
; WaveLimiterHint : 1
; COMPUTE_PGM_RSRC2:SCRATCH_EN: 1
; COMPUTE_PGM_RSRC2:USER_SGPR: 15
; COMPUTE_PGM_RSRC2:TRAP_HANDLER: 0
; COMPUTE_PGM_RSRC2:TGID_X_EN: 1
; COMPUTE_PGM_RSRC2:TGID_Y_EN: 0
; COMPUTE_PGM_RSRC2:TGID_Z_EN: 0
; COMPUTE_PGM_RSRC2:TIDIG_COMP_CNT: 0
	.text
	.p2alignl 7, 3214868480
	.fill 96, 4, 3214868480
	.type	__hip_cuid_f77e61a58523dedc,@object ; @__hip_cuid_f77e61a58523dedc
	.section	.bss,"aw",@nobits
	.globl	__hip_cuid_f77e61a58523dedc
__hip_cuid_f77e61a58523dedc:
	.byte	0                               ; 0x0
	.size	__hip_cuid_f77e61a58523dedc, 1

	.ident	"AMD clang version 19.0.0git (https://github.com/RadeonOpenCompute/llvm-project roc-6.4.0 25133 c7fe45cf4b819c5991fe208aaa96edf142730f1d)"
	.section	".note.GNU-stack","",@progbits
	.addrsig
	.addrsig_sym __hip_cuid_f77e61a58523dedc
	.amdgpu_metadata
---
amdhsa.kernels:
  - .args:
      - .actual_access:  read_only
        .address_space:  global
        .offset:         0
        .size:           8
        .value_kind:     global_buffer
      - .offset:         8
        .size:           8
        .value_kind:     by_value
      - .actual_access:  read_only
        .address_space:  global
        .offset:         16
        .size:           8
        .value_kind:     global_buffer
      - .actual_access:  read_only
        .address_space:  global
        .offset:         24
        .size:           8
        .value_kind:     global_buffer
      - .offset:         32
        .size:           8
        .value_kind:     by_value
      - .actual_access:  read_only
        .address_space:  global
        .offset:         40
        .size:           8
        .value_kind:     global_buffer
      - .actual_access:  read_only
        .address_space:  global
        .offset:         48
        .size:           8
        .value_kind:     global_buffer
      - .offset:         56
        .size:           4
        .value_kind:     by_value
      - .actual_access:  read_only
        .address_space:  global
        .offset:         64
        .size:           8
        .value_kind:     global_buffer
      - .actual_access:  read_only
        .address_space:  global
        .offset:         72
        .size:           8
        .value_kind:     global_buffer
      - .address_space:  global
        .offset:         80
        .size:           8
        .value_kind:     global_buffer
    .group_segment_fixed_size: 0
    .kernarg_segment_align: 8
    .kernarg_segment_size: 88
    .language:       OpenCL C
    .language_version:
      - 2
      - 0
    .max_flat_workgroup_size: 56
    .name:           fft_rtc_fwd_len1960_factors_4_7_2_7_5_wgs_56_tpt_56_halfLds_dp_ip_CI_sbrr_dirReg
    .private_segment_fixed_size: 96
    .sgpr_count:     30
    .sgpr_spill_count: 0
    .symbol:         fft_rtc_fwd_len1960_factors_4_7_2_7_5_wgs_56_tpt_56_halfLds_dp_ip_CI_sbrr_dirReg.kd
    .uniform_work_group_size: 1
    .uses_dynamic_stack: false
    .vgpr_count:     256
    .vgpr_spill_count: 42
    .wavefront_size: 32
    .workgroup_processor_mode: 1
amdhsa.target:   amdgcn-amd-amdhsa--gfx1100
amdhsa.version:
  - 1
  - 2
...

	.end_amdgpu_metadata
